;; amdgpu-corpus repo=ROCm/rocFFT kind=compiled arch=gfx1201 opt=O3
	.text
	.amdgcn_target "amdgcn-amd-amdhsa--gfx1201"
	.amdhsa_code_object_version 6
	.protected	bluestein_single_fwd_len1452_dim1_half_op_CI_CI ; -- Begin function bluestein_single_fwd_len1452_dim1_half_op_CI_CI
	.globl	bluestein_single_fwd_len1452_dim1_half_op_CI_CI
	.p2align	8
	.type	bluestein_single_fwd_len1452_dim1_half_op_CI_CI,@function
bluestein_single_fwd_len1452_dim1_half_op_CI_CI: ; @bluestein_single_fwd_len1452_dim1_half_op_CI_CI
; %bb.0:
	s_load_b128 s[12:15], s[0:1], 0x28
	v_mul_u32_u24_e32 v1, 0x1f1, v0
	s_mov_b32 s2, exec_lo
	v_mov_b32_e32 v18, 0
	s_delay_alu instid0(VALU_DEP_2) | instskip(NEXT) | instid1(VALU_DEP_1)
	v_lshrrev_b32_e32 v1, 16, v1
	v_add_nc_u32_e32 v17, ttmp9, v1
	s_wait_kmcnt 0x0
	s_delay_alu instid0(VALU_DEP_1)
	v_cmpx_gt_u64_e64 s[12:13], v[17:18]
	s_cbranch_execz .LBB0_18
; %bb.1:
	s_clause 0x1
	s_load_b128 s[4:7], s[0:1], 0x18
	s_load_b128 s[8:11], s[0:1], 0x0
	v_mul_lo_u16 v1, 0x84, v1
	s_delay_alu instid0(VALU_DEP_1) | instskip(NEXT) | instid1(VALU_DEP_1)
	v_sub_nc_u16 v8, v0, v1
	v_and_b32_e32 v55, 0xffff, v8
	s_delay_alu instid0(VALU_DEP_1)
	v_lshlrev_b32_e32 v38, 2, v55
	s_wait_kmcnt 0x0
	s_load_b128 s[16:19], s[4:5], 0x0
	s_wait_kmcnt 0x0
	v_mad_co_u64_u32 v[0:1], null, s18, v17, 0
	v_mad_co_u64_u32 v[2:3], null, s16, v55, 0
	s_mul_u64 s[2:3], s[16:17], 0x210
	s_delay_alu instid0(VALU_DEP_1) | instskip(NEXT) | instid1(VALU_DEP_1)
	v_mad_co_u64_u32 v[4:5], null, s19, v17, v[1:2]
	v_mad_co_u64_u32 v[5:6], null, s17, v55, v[3:4]
	v_dual_mov_b32 v1, v4 :: v_dual_add_nc_u32 v6, 0x1000, v38
	v_add_nc_u32_e32 v4, 0x800, v38
	s_delay_alu instid0(VALU_DEP_2) | instskip(NEXT) | instid1(VALU_DEP_4)
	v_lshlrev_b64_e32 v[0:1], 2, v[0:1]
	v_mov_b32_e32 v3, v5
	v_add_nc_u32_e32 v5, 0x400, v38
	s_delay_alu instid0(VALU_DEP_3) | instskip(NEXT) | instid1(VALU_DEP_3)
	v_add_co_u32 v0, vcc_lo, s14, v0
	v_lshlrev_b64_e32 v[2:3], 2, v[2:3]
	v_add_co_ci_u32_e32 v1, vcc_lo, s15, v1, vcc_lo
	s_delay_alu instid0(VALU_DEP_2) | instskip(SKIP_1) | instid1(VALU_DEP_2)
	v_add_co_u32 v0, vcc_lo, v0, v2
	s_wait_alu 0xfffd
	v_add_co_ci_u32_e32 v1, vcc_lo, v1, v3, vcc_lo
	s_delay_alu instid0(VALU_DEP_2) | instskip(SKIP_1) | instid1(VALU_DEP_2)
	v_add_co_u32 v2, vcc_lo, v0, s2
	s_wait_alu 0xfffd
	v_add_co_ci_u32_e32 v3, vcc_lo, s3, v1, vcc_lo
	s_clause 0x7
	global_load_b32 v58, v38, s[8:9]
	global_load_b32 v57, v38, s[8:9] offset:528
	global_load_b32 v56, v38, s[8:9] offset:1056
	;; [unrolled: 1-line block ×7, first 2 shown]
	global_load_b32 v7, v[0:1], off
	s_clause 0x1
	global_load_b32 v43, v38, s[8:9] offset:4224
	global_load_b32 v41, v38, s[8:9] offset:4752
	global_load_b32 v9, v[2:3], off
	v_add_co_u32 v0, vcc_lo, v2, s2
	s_wait_alu 0xfffd
	v_add_co_ci_u32_e32 v1, vcc_lo, s3, v3, vcc_lo
	global_load_b32 v39, v38, s[8:9] offset:5280
	v_add_co_u32 v2, vcc_lo, v0, s2
	s_wait_alu 0xfffd
	v_add_co_ci_u32_e32 v3, vcc_lo, s3, v1, vcc_lo
	global_load_b32 v10, v[0:1], off
	v_add_co_u32 v0, vcc_lo, v2, s2
	s_wait_alu 0xfffd
	v_add_co_ci_u32_e32 v1, vcc_lo, s3, v3, vcc_lo
	s_clause 0x1
	global_load_b32 v11, v[2:3], off
	global_load_b32 v12, v[0:1], off
	v_add_co_u32 v0, vcc_lo, v0, s2
	s_wait_alu 0xfffd
	v_add_co_ci_u32_e32 v1, vcc_lo, s3, v1, vcc_lo
	s_delay_alu instid0(VALU_DEP_2) | instskip(SKIP_1) | instid1(VALU_DEP_2)
	v_add_co_u32 v2, vcc_lo, v0, s2
	s_wait_alu 0xfffd
	v_add_co_ci_u32_e32 v3, vcc_lo, s3, v1, vcc_lo
	global_load_b32 v13, v[0:1], off
	v_add_co_u32 v0, vcc_lo, v2, s2
	s_wait_alu 0xfffd
	v_add_co_ci_u32_e32 v1, vcc_lo, s3, v3, vcc_lo
	global_load_b32 v14, v[2:3], off
	;; [unrolled: 4-line block ×5, first 2 shown]
	global_load_b32 v1, v[2:3], off
	v_add_nc_u32_e32 v3, 0xc00, v38
	s_load_b128 s[4:7], s[6:7], 0x0
	s_load_b64 s[2:3], s[0:1], 0x38
	v_cmp_gt_u16_e32 vcc_lo, 0x58, v8
	s_wait_loadcnt 0x15
	v_lshrrev_b32_e32 v61, 16, v58
	s_wait_loadcnt 0x14
	v_lshrrev_b32_e32 v60, 16, v57
	;; [unrolled: 2-line block ×9, first 2 shown]
	v_mul_f16_e32 v18, v61, v7
	s_wait_loadcnt 0xc
	v_lshrrev_b32_e32 v44, 16, v43
	s_wait_loadcnt 0xa
	v_lshrrev_b32_e32 v20, 16, v9
	v_mul_f16_e32 v21, v60, v9
	v_mul_f16_e32 v19, v61, v2
	v_fma_f16 v2, v58, v2, -v18
	v_lshrrev_b32_e32 v42, 16, v41
	s_wait_loadcnt 0x9
	v_lshrrev_b32_e32 v40, 16, v39
	v_fmac_f16_e32 v19, v58, v7
	v_mul_f16_e32 v7, v60, v20
	v_fma_f16 v20, v57, v20, -v21
	s_wait_loadcnt 0x8
	v_lshrrev_b32_e32 v18, 16, v10
	v_mul_f16_e32 v21, v59, v10
	v_pack_b32_f16 v2, v19, v2
	v_fmac_f16_e32 v7, v57, v9
	s_delay_alu instid0(VALU_DEP_4)
	v_mul_f16_e32 v9, v59, v18
	s_wait_loadcnt 0x7
	v_lshrrev_b32_e32 v19, 16, v11
	v_fma_f16 v18, v56, v18, -v21
	v_pack_b32_f16 v7, v7, v20
	s_wait_loadcnt 0x6
	v_lshrrev_b32_e32 v20, 16, v12
	v_fmac_f16_e32 v9, v56, v10
	v_mul_f16_e32 v22, v54, v11
	v_mul_f16_e32 v10, v54, v19
	ds_store_2addr_b32 v38, v2, v7 offset1:132
	v_mul_f16_e32 v7, v52, v20
	v_pack_b32_f16 v2, v9, v18
	v_fma_f16 v19, v53, v19, -v22
	s_wait_loadcnt 0x5
	v_lshrrev_b32_e32 v9, 16, v13
	v_mul_f16_e32 v21, v52, v12
	v_fmac_f16_e32 v10, v53, v11
	v_mul_f16_e32 v11, v50, v13
	v_fmac_f16_e32 v7, v51, v12
	v_mul_f16_e32 v12, v50, v9
	v_fma_f16 v18, v51, v20, -v21
	v_pack_b32_f16 v10, v10, v19
	v_fma_f16 v9, v49, v9, -v11
	s_wait_loadcnt 0x4
	v_lshrrev_b32_e32 v11, 16, v14
	v_mul_f16_e32 v19, v48, v14
	v_fmac_f16_e32 v12, v49, v13
	s_wait_loadcnt 0x3
	v_lshrrev_b32_e32 v13, 16, v15
	v_pack_b32_f16 v7, v7, v18
	v_mul_f16_e32 v18, v48, v11
	v_fma_f16 v11, v47, v11, -v19
	v_mul_f16_e32 v19, v46, v15
	v_pack_b32_f16 v9, v12, v9
	v_mul_f16_e32 v12, v46, v13
	v_fmac_f16_e32 v18, v47, v14
	s_wait_loadcnt 0x2
	v_lshrrev_b32_e32 v14, 16, v16
	v_fma_f16 v13, v45, v13, -v19
	v_mul_f16_e32 v19, v44, v16
	v_fmac_f16_e32 v12, v45, v15
	s_wait_loadcnt 0x1
	v_lshrrev_b32_e32 v15, 16, v0
	s_wait_loadcnt 0x0
	v_lshrrev_b32_e32 v21, 16, v1
	v_mul_f16_e32 v20, v44, v14
	v_fma_f16 v14, v43, v14, -v19
	v_mul_f16_e32 v19, v42, v0
	v_mul_f16_e32 v22, v42, v15
	;; [unrolled: 1-line block ×4, first 2 shown]
	v_fmac_f16_e32 v20, v43, v16
	v_fma_f16 v15, v41, v15, -v19
	v_fmac_f16_e32 v22, v41, v0
	v_fma_f16 v0, v39, v21, -v23
	v_fmac_f16_e32 v24, v39, v1
	v_pack_b32_f16 v1, v18, v11
	v_pack_b32_f16 v11, v12, v13
	;; [unrolled: 1-line block ×5, first 2 shown]
	ds_store_2addr_b32 v5, v2, v10 offset0:8 offset1:140
	ds_store_2addr_b32 v4, v7, v9 offset0:16 offset1:148
	;; [unrolled: 1-line block ×4, first 2 shown]
	ds_store_b32 v38, v0 offset:5280
	global_wb scope:SCOPE_SE
	s_wait_dscnt 0x0
	s_wait_kmcnt 0x0
	s_barrier_signal -1
	s_barrier_wait -1
	global_inv scope:SCOPE_SE
	ds_load_2addr_b32 v[0:1], v38 offset1:132
	ds_load_b32 v2, v38 offset:5280
	v_mul_lo_u16 v11, v8, 11
	ds_load_2addr_b32 v[9:10], v5 offset0:8 offset1:140
	ds_load_2addr_b32 v[6:7], v6 offset0:32 offset1:164
                                        ; implicit-def: $vgpr8
	v_and_b32_e32 v15, 0xffff, v11
	ds_load_2addr_b32 v[11:12], v4 offset0:16 offset1:148
	ds_load_2addr_b32 v[13:14], v3 offset0:24 offset1:156
	global_wb scope:SCOPE_SE
	s_wait_dscnt 0x0
	s_barrier_signal -1
	s_barrier_wait -1
	v_lshlrev_b32_e32 v62, 2, v15
	v_add_nc_u32_e32 v15, 0xe00, v38
	global_inv scope:SCOPE_SE
	v_pk_add_f16 v3, v0, v1
	v_pk_add_f16 v16, v2, v1
	v_pk_add_f16 v1, v1, v2 neg_lo:[0,1] neg_hi:[0,1]
	v_pk_add_f16 v20, v7, v9
	v_pk_add_f16 v21, v9, v7 neg_lo:[0,1] neg_hi:[0,1]
	v_pk_add_f16 v3, v3, v9
	v_pk_add_f16 v22, v6, v10
	v_pk_add_f16 v23, v10, v6 neg_lo:[0,1] neg_hi:[0,1]
	v_pk_add_f16 v24, v14, v11
	v_pk_add_f16 v25, v11, v14 neg_lo:[0,1] neg_hi:[0,1]
	;; [unrolled: 2-line block ×3, first 2 shown]
	v_lshrrev_b32_e32 v9, 16, v1
	v_pk_mul_f16 v28, 0x3abb36a6, v16
	v_pk_mul_f16 v76, 0xbbad, v16 op_sel_hi:[0,1]
	v_pk_add_f16 v3, v3, v10
	v_lshrrev_b32_e32 v29, 16, v16
	v_mul_f16_e32 v30, 0xbb47, v1
	v_mul_f16_e32 v31, 0xbbeb, v1
	;; [unrolled: 1-line block ×3, first 2 shown]
	v_lshrrev_b32_e32 v33, 16, v21
	v_pk_mul_f16 v34, 0x36a6b93d, v20
	v_lshrrev_b32_e32 v35, 16, v20
	v_mul_f16_e32 v36, 0xba0c, v21
	v_mul_f16_e32 v37, 0x3482, v21
	v_mul_f16_e32 v63, 0x3beb, v21
	v_lshrrev_b32_e32 v64, 16, v22
	v_mul_f16_e32 v65, 0x3482, v23
	v_mul_f16_e32 v66, 0x3b47, v23
	v_mul_f16_e32 v67, 0xb853, v23
	;; [unrolled: 4-line block ×4, first 2 shown]
	v_pk_mul_f16 v77, 0x3abb, v20 op_sel_hi:[0,1]
	v_pk_mul_f16 v78, 0xb08ebbad, v22
	v_pk_mul_f16 v79, 0xb93d, v22 op_sel_hi:[0,1]
	v_lshrrev_b32_e32 v80, 16, v23
	v_pk_mul_f16 v81, 0xb93db08e, v24
	v_pk_mul_f16 v82, 0x36a6, v24 op_sel_hi:[0,1]
	v_lshrrev_b32_e32 v83, 16, v25
	;; [unrolled: 3-line block ×3, first 2 shown]
	v_mul_f16_e32 v10, 0xb853, v9
	v_pk_fma_f16 v87, 0xbb47b853, v1, v28 op_sel:[0,0,1] op_sel_hi:[1,1,0] neg_lo:[0,1,0] neg_hi:[0,1,0]
	v_pk_fma_f16 v28, 0xbb47b853, v1, v28 op_sel:[0,0,1] op_sel_hi:[1,1,0]
	v_mul_f16_e32 v89, 0xbbeb, v9
	v_mul_f16_e32 v9, 0xba0c, v9
	v_pk_fma_f16 v99, 0xb482, v1, v76 op_sel:[0,0,1] op_sel_hi:[0,1,0] neg_lo:[0,1,0] neg_hi:[0,1,0]
	v_pk_add_f16 v3, v3, v11
	v_lshrrev_b32_e32 v19, 16, v0
	v_fmamk_f16 v88, v29, 0x36a6, v30
	v_fma_f16 v30, v29, 0x36a6, -v30
	v_fmamk_f16 v90, v29, 0xb08e, v31
	v_fma_f16 v31, v29, 0xb08e, -v31
	;; [unrolled: 2-line block ×3, first 2 shown]
	v_mul_f16_e32 v32, 0xbb47, v33
	v_pk_fma_f16 v92, 0xba0cbb47, v21, v34 op_sel:[0,0,1] op_sel_hi:[1,1,0] neg_lo:[0,1,0] neg_hi:[0,1,0]
	v_pk_fma_f16 v34, 0xba0cbb47, v21, v34 op_sel:[0,0,1] op_sel_hi:[1,1,0]
	v_fmamk_f16 v93, v35, 0xb93d, v36
	v_fma_f16 v36, v35, 0xb93d, -v36
	v_mul_f16_e32 v94, 0x3482, v33
	v_fmamk_f16 v95, v35, 0xbbad, v37
	v_fma_f16 v37, v35, 0xbbad, -v37
	v_mul_f16_e32 v33, 0x3beb, v33
	v_fmamk_f16 v96, v35, 0xb08e, v63
	v_fma_f16 v35, v35, 0xb08e, -v63
	v_fmamk_f16 v63, v64, 0xbbad, v65
	v_fma_f16 v65, v64, 0xbbad, -v65
	;; [unrolled: 2-line block ×5, first 2 shown]
	v_pk_fma_f16 v1, 0xb482, v1, v76 op_sel:[0,0,1] op_sel_hi:[0,1,0]
	v_fmamk_f16 v76, v68, 0x3abb, v70
	v_fma_f16 v70, v68, 0x3abb, -v70
	v_fmamk_f16 v100, v68, 0xbbad, v71
	v_fma_f16 v68, v68, 0xbbad, -v71
	;; [unrolled: 2-line block ×5, first 2 shown]
	v_pk_fma_f16 v75, 0x3853, v21, v77 op_sel:[0,0,1] op_sel_hi:[0,1,0] neg_lo:[0,1,0] neg_hi:[0,1,0]
	v_pk_fma_f16 v21, 0x3853, v21, v77 op_sel:[0,0,1] op_sel_hi:[0,1,0]
	v_pk_fma_f16 v77, 0x3482bbeb, v23, v78 op_sel:[0,0,1] op_sel_hi:[1,1,0] neg_lo:[0,1,0] neg_hi:[0,1,0]
	v_pk_fma_f16 v78, 0x3482bbeb, v23, v78 op_sel:[0,0,1] op_sel_hi:[1,1,0]
	v_pk_fma_f16 v103, 0xba0c, v23, v79 op_sel:[0,0,1] op_sel_hi:[0,1,0] neg_lo:[0,1,0] neg_hi:[0,1,0]
	v_pk_fma_f16 v23, 0xba0c, v23, v79 op_sel:[0,0,1] op_sel_hi:[0,1,0]
	v_mul_f16_e32 v79, 0xbbeb, v80
	v_mul_f16_e32 v104, 0x3b47, v80
	;; [unrolled: 1-line block ×3, first 2 shown]
	v_pk_fma_f16 v105, 0x3bebba0c, v25, v81 op_sel:[0,0,1] op_sel_hi:[1,1,0] neg_lo:[0,1,0] neg_hi:[0,1,0]
	v_pk_fma_f16 v81, 0x3bebba0c, v25, v81 op_sel:[0,0,1] op_sel_hi:[1,1,0]
	v_pk_fma_f16 v106, 0x3b47, v25, v82 op_sel:[0,0,1] op_sel_hi:[0,1,0] neg_lo:[0,1,0] neg_hi:[0,1,0]
	v_pk_fma_f16 v25, 0x3b47, v25, v82 op_sel:[0,0,1] op_sel_hi:[0,1,0]
	v_mul_f16_e32 v82, 0xba0c, v83
	v_mul_f16_e32 v107, 0xb853, v83
	;; [unrolled: 1-line block ×3, first 2 shown]
	v_pk_fma_f16 v108, 0x3853b482, v27, v84 op_sel:[0,0,1] op_sel_hi:[1,1,0] neg_lo:[0,1,0] neg_hi:[0,1,0]
	v_pk_fma_f16 v84, 0x3853b482, v27, v84 op_sel:[0,0,1] op_sel_hi:[1,1,0]
	v_pk_fma_f16 v109, 0xbbeb, v27, v85 op_sel:[0,0,1] op_sel_hi:[0,1,0] neg_lo:[0,1,0] neg_hi:[0,1,0]
	v_pk_fma_f16 v27, 0xbbeb, v27, v85 op_sel:[0,0,1] op_sel_hi:[0,1,0]
	v_mul_f16_e32 v85, 0xb482, v86
	v_mul_f16_e32 v110, 0xba0c, v86
	;; [unrolled: 1-line block ×3, first 2 shown]
	v_fma_f16 v11, v16, 0x3abb, -v10
	v_bfi_b32 v111, 0xffff, v28, v87
	v_fma_f16 v112, v16, 0xb08e, -v89
	v_fma_f16 v113, v16, 0xb93d, -v9
	v_alignbit_b32 v18, s0, v0, 16
	v_fmac_f16_e32 v10, 0x3abb, v16
	v_fmac_f16_e32 v89, 0xb08e, v16
	;; [unrolled: 1-line block ×3, first 2 shown]
	v_lshrrev_b32_e32 v16, 16, v28
	v_alignbit_b32 v28, s0, v99, 16
	v_pk_add_f16 v3, v3, v12
	v_pk_add_f16 v1, v0, v1 op_sel:[1,0] op_sel_hi:[0,1]
	v_fma_f16 v114, v20, 0x36a6, -v32
	v_fmac_f16_e32 v32, 0x36a6, v20
	v_fma_f16 v115, v20, 0xbbad, -v94
	v_fmac_f16_e32 v94, 0xbbad, v20
	;; [unrolled: 2-line block ×9, first 2 shown]
	v_add_f16_e32 v24, v19, v88
	v_add_f16_e32 v30, v19, v30
	;; [unrolled: 1-line block ×7, first 2 shown]
	v_fma_f16 v87, v26, 0xbbad, -v85
	v_fmac_f16_e32 v85, 0xbbad, v26
	v_fma_f16 v91, v26, 0xb93d, -v110
	v_fmac_f16_e32 v110, 0xb93d, v26
	;; [unrolled: 2-line block ×3, first 2 shown]
	v_bfi_b32 v26, 0xffff, v34, v92
	v_add_f16_e32 v11, v0, v11
	v_pk_add_f16 v12, v0, v111 op_sel:[1,0] op_sel_hi:[0,1]
	v_add_f16_e32 v111, v0, v112
	v_add_f16_e32 v112, v0, v113
	v_pk_add_f16 v18, v18, v99
	v_alignbit_b32 v99, s0, v75, 16
	v_add_f16_e32 v10, v0, v10
	v_add_f16_e32 v89, v0, v89
	;; [unrolled: 1-line block ×4, first 2 shown]
	v_pk_add_f16 v0, v0, v28
	v_lshrrev_b32_e32 v34, 16, v34
	v_pk_add_f16 v3, v3, v13
	v_bfi_b32 v122, 0xffff, v78, v77
	v_add_f16_e32 v24, v93, v24
	v_pk_add_f16 v1, v21, v1
	v_add_f16_e32 v19, v92, v19
	v_add_f16_e32 v11, v114, v11
	v_pk_add_f16 v12, v26, v12
	v_add_f16_e32 v28, v36, v30
	v_add_f16_e32 v30, v95, v88
	;; [unrolled: 1-line block ×5, first 2 shown]
	v_alignbit_b32 v125, s0, v103, 16
	v_pk_add_f16 v18, v75, v18
	v_pk_add_f16 v0, v99, v0
	v_add_f16_e32 v31, v37, v31
	v_add_f16_e32 v29, v35, v29
	;; [unrolled: 1-line block ×5, first 2 shown]
	v_lshrrev_b32_e32 v78, 16, v78
	v_add_f16_e32 v16, v34, v16
	v_pk_add_f16 v3, v3, v14
	v_bfi_b32 v123, 0xffff, v81, v105
	v_add_f16_e32 v24, v63, v24
	v_pk_add_f16 v1, v23, v1
	v_add_f16_e32 v19, v77, v19
	v_add_f16_e32 v11, v20, v11
	v_pk_add_f16 v12, v122, v12
	v_add_f16_e32 v28, v65, v28
	v_add_f16_e32 v30, v97, v30
	;; [unrolled: 1-line block ×5, first 2 shown]
	v_alignbit_b32 v126, s0, v106, 16
	v_pk_add_f16 v18, v103, v18
	v_pk_add_f16 v0, v125, v0
	v_add_f16_e32 v31, v66, v31
	v_add_f16_e32 v29, v64, v29
	;; [unrolled: 1-line block ×5, first 2 shown]
	v_lshrrev_b32_e32 v81, 16, v81
	v_add_f16_e32 v16, v78, v16
	v_pk_add_f16 v3, v3, v6
	v_bfi_b32 v124, 0xffff, v84, v108
	v_add_f16_e32 v21, v67, v24
	v_add_f16_e32 v19, v105, v19
	v_pk_add_f16 v1, v25, v1
	v_add_f16_e32 v6, v22, v11
	v_pk_add_f16 v25, v123, v12
	v_add_f16_e32 v23, v69, v28
	v_add_f16_e32 v24, v76, v30
	;; [unrolled: 1-line block ×5, first 2 shown]
	v_alignbit_b32 v127, s0, v109, 16
	v_pk_add_f16 v18, v106, v18
	v_pk_add_f16 v0, v126, v0
	v_add_f16_e32 v26, v70, v31
	v_add_f16_e32 v29, v68, v29
	;; [unrolled: 1-line block ×5, first 2 shown]
	v_lshrrev_b32_e32 v84, 16, v84
	v_add_f16_e32 v9, v81, v16
	v_pk_add_f16 v3, v3, v7
	v_add_f16_e32 v11, v108, v19
	v_add_f16_e32 v19, v71, v21
	;; [unrolled: 1-line block ×3, first 2 shown]
	v_pk_add_f16 v7, v124, v25
	v_add_f16_e32 v10, v73, v23
	v_add_f16_e32 v16, v101, v24
	;; [unrolled: 1-line block ×5, first 2 shown]
	v_pk_add_f16 v1, v27, v1
	v_pk_add_f16 v18, v109, v18
	;; [unrolled: 1-line block ×3, first 2 shown]
	v_add_f16_e32 v21, v74, v26
	v_add_f16_e32 v24, v72, v29
	;; [unrolled: 1-line block ×6, first 2 shown]
	v_pk_add_f16 v2, v3, v2
	v_alignbit_b32 v3, v19, v7, 16
	v_pack_b32_f16 v6, v6, v7
	v_pack_b32_f16 v7, v20, v23
	;; [unrolled: 1-line block ×3, first 2 shown]
	v_alignbit_b32 v18, v18, v1, 16
	v_pack_b32_f16 v0, v0, v1
	v_pack_b32_f16 v1, v14, v21
	;; [unrolled: 1-line block ×5, first 2 shown]
	ds_store_b32 v62, v2
	ds_store_2addr_b32 v62, v6, v3 offset0:1 offset1:2
	ds_store_2addr_b32 v62, v13, v7 offset0:3 offset1:4
	ds_store_2addr_b32 v62, v0, v18 offset0:5 offset1:6
	ds_store_2addr_b32 v62, v14, v1 offset0:7 offset1:8
	ds_store_2addr_b32 v62, v19, v16 offset0:9 offset1:10
	global_wb scope:SCOPE_SE
	s_wait_dscnt 0x0
	s_barrier_signal -1
	s_barrier_wait -1
	global_inv scope:SCOPE_SE
	ds_load_2addr_b32 v[2:3], v38 offset1:132
	ds_load_2addr_b32 v[0:1], v5 offset0:8 offset1:228
	ds_load_2addr_b32 v[6:7], v15 offset0:72 offset1:204
	;; [unrolled: 1-line block ×3, first 2 shown]
	ds_load_b32 v13, v38 offset:4928
                                        ; implicit-def: $vgpr14
	s_and_saveexec_b32 s0, vcc_lo
	s_cbranch_execz .LBB0_3
; %bb.2:
	ds_load_b32 v9, v38 offset:1584
	ds_load_b32 v12, v38 offset:3520
	;; [unrolled: 1-line block ×3, first 2 shown]
	s_wait_dscnt 0x2
	v_lshrrev_b32_e32 v10, 16, v9
	s_wait_dscnt 0x1
	v_lshrrev_b32_e32 v11, 16, v12
	;; [unrolled: 2-line block ×3, first 2 shown]
.LBB0_3:
	s_wait_alu 0xfffe
	s_or_b32 exec_lo, exec_lo, s0
	v_and_b32_e32 v15, 0xff, v55
	v_add_co_u32 v18, null, 0x84, v55
	v_add_co_u32 v77, null, 0x108, v55
	s_delay_alu instid0(VALU_DEP_3) | instskip(SKIP_1) | instid1(VALU_DEP_4)
	v_mul_lo_u16 v15, 0x75, v15
	v_add_nc_u16 v19, v55, 0x18c
	v_and_b32_e32 v20, 0xffff, v18
	s_delay_alu instid0(VALU_DEP_4)
	v_and_b32_e32 v21, 0xffff, v77
	s_wait_dscnt 0x3
	v_lshrrev_b32_e32 v31, 16, v1
	v_lshrrev_b16 v15, 8, v15
	v_and_b32_e32 v22, 0xffff, v19
	v_mul_u32_u24_e32 v20, 0xba2f, v20
	v_mul_u32_u24_e32 v21, 0xba2f, v21
	s_wait_dscnt 0x2
	v_lshrrev_b32_e32 v32, 16, v6
	v_sub_nc_u16 v16, v55, v15
	s_wait_dscnt 0x1
	v_lshrrev_b32_e32 v34, 16, v4
	v_lshrrev_b32_e32 v26, 19, v20
	;; [unrolled: 1-line block ×4, first 2 shown]
	v_lshrrev_b16 v16, 1, v16
	s_wait_dscnt 0x0
	v_lshrrev_b32_e32 v36, 16, v13
	v_lshrrev_b32_e32 v33, 16, v3
	v_mul_lo_u16 v20, v27, 11
	v_lshrrev_b32_e32 v30, 16, v2
	v_and_b32_e32 v16, 0x7f, v16
	s_delay_alu instid0(VALU_DEP_3) | instskip(NEXT) | instid1(VALU_DEP_2)
	v_sub_nc_u16 v28, v77, v20
	v_add_nc_u16 v15, v16, v15
	v_mul_u32_u24_e32 v16, 0xba2f, v22
	s_delay_alu instid0(VALU_DEP_3) | instskip(NEXT) | instid1(VALU_DEP_3)
	v_lshlrev_b16 v20, 1, v28
	v_lshrrev_b16 v15, 3, v15
	s_delay_alu instid0(VALU_DEP_3) | instskip(SKIP_1) | instid1(VALU_DEP_4)
	v_lshrrev_b32_e32 v63, 19, v16
	v_mul_lo_u16 v16, v26, 11
	v_and_b32_e32 v20, 0xffff, v20
	s_delay_alu instid0(VALU_DEP_4) | instskip(NEXT) | instid1(VALU_DEP_4)
	v_mul_lo_u16 v21, v15, 11
	v_mul_lo_u16 v22, v63, 11
	s_delay_alu instid0(VALU_DEP_4) | instskip(NEXT) | instid1(VALU_DEP_4)
	v_sub_nc_u16 v16, v18, v16
	v_lshlrev_b32_e32 v20, 2, v20
	v_and_b32_e32 v15, 0xffff, v15
	v_sub_nc_u16 v18, v55, v21
	v_sub_nc_u16 v64, v19, v22
	v_lshlrev_b16 v19, 1, v16
	v_mad_u16 v16, v26, 33, v16
	v_mad_u16 v26, v27, 33, v28
	v_and_b32_e32 v29, 0xff, v18
	v_lshlrev_b16 v18, 1, v64
	v_and_b32_e32 v19, 0xffff, v19
	v_mul_u32_u24_e32 v15, 33, v15
	v_and_b32_e32 v26, 0xffff, v26
	v_lshlrev_b32_e32 v21, 3, v29
	v_and_b32_e32 v18, 0xffff, v18
	v_lshlrev_b32_e32 v19, 2, v19
	v_lshrrev_b32_e32 v27, 16, v7
	v_and_b32_e32 v16, 0xffff, v16
	global_load_b64 v[24:25], v21, s[10:11]
	v_lshlrev_b32_e32 v18, 2, v18
	v_lshlrev_b32_e32 v65, 2, v26
	s_clause 0x2
	global_load_b64 v[22:23], v19, s[10:11]
	global_load_b64 v[20:21], v20, s[10:11]
	;; [unrolled: 1-line block ×3, first 2 shown]
	v_add_lshl_u32 v67, v15, v29, 2
	v_lshlrev_b32_e32 v66, 2, v16
	v_lshrrev_b32_e32 v28, 16, v0
	global_wb scope:SCOPE_SE
	s_wait_loadcnt 0x0
	s_barrier_signal -1
	s_barrier_wait -1
	global_inv scope:SCOPE_SE
	v_lshrrev_b32_e32 v75, 16, v24
	v_lshrrev_b32_e32 v74, 16, v25
	;; [unrolled: 1-line block ×8, first 2 shown]
	v_mul_f16_e32 v26, v31, v75
	v_mul_f16_e32 v29, v1, v75
	;; [unrolled: 1-line block ×16, first 2 shown]
	v_fma_f16 v26, v1, v24, -v26
	v_fmac_f16_e32 v29, v31, v24
	v_fma_f16 v31, v6, v25, -v37
	v_fmac_f16_e32 v76, v32, v25
	;; [unrolled: 2-line block ×8, first 2 shown]
	v_add_f16_e32 v11, v26, v31
	v_add_f16_e32 v27, v29, v76
	;; [unrolled: 1-line block ×4, first 2 shown]
	v_sub_f16_e32 v34, v79, v81
	v_add_f16_e32 v35, v33, v79
	v_add_f16_e32 v79, v5, v13
	v_sub_f16_e32 v80, v83, v85
	v_add_f16_e32 v82, v28, v83
	v_add_f16_e32 v83, v83, v85
	;; [unrolled: 1-line block ×3, first 2 shown]
	v_sub_f16_e32 v12, v29, v76
	v_add_f16_e32 v14, v30, v29
	v_sub_f16_e32 v26, v26, v31
	v_add_f16_e32 v29, v3, v6
	v_add_f16_e32 v86, v4, v1
	v_add_f16_e32 v87, v16, v15
	v_fma_f16 v11, -0.5, v11, v2
	v_fmac_f16_e32 v30, -0.5, v27
	v_sub_f16_e32 v37, v6, v7
	v_fmac_f16_e32 v3, -0.5, v32
	v_fmac_f16_e32 v33, -0.5, v36
	v_add_f16_e32 v78, v0, v5
	v_sub_f16_e32 v84, v5, v13
	v_fmac_f16_e32 v0, -0.5, v79
	v_fmac_f16_e32 v28, -0.5, v83
	v_sub_f16_e32 v5, v16, v15
	v_sub_f16_e32 v6, v4, v1
	v_add_f16_e32 v8, v8, v31
	v_add_f16_e32 v14, v14, v76
	;; [unrolled: 1-line block ×3, first 2 shown]
	v_fma_f16 v2, -0.5, v86, v9
	v_fma_f16 v7, -0.5, v87, v10
	v_fmamk_f16 v32, v12, 0x3aee, v11
	v_fmac_f16_e32 v11, 0xbaee, v12
	v_fmamk_f16 v12, v26, 0xbaee, v30
	v_fmac_f16_e32 v30, 0x3aee, v26
	v_add_f16_e32 v29, v35, v81
	v_fmamk_f16 v26, v34, 0x3aee, v3
	v_fmac_f16_e32 v3, 0xbaee, v34
	v_fmamk_f16 v34, v37, 0xbaee, v33
	v_fmac_f16_e32 v33, 0x3aee, v37
	v_add_f16_e32 v13, v78, v13
	v_add_f16_e32 v31, v82, v85
	v_fmamk_f16 v35, v80, 0x3aee, v0
	v_fmamk_f16 v36, v84, 0xbaee, v28
	v_fmac_f16_e32 v0, 0xbaee, v80
	v_fmac_f16_e32 v28, 0x3aee, v84
	v_fmamk_f16 v94, v5, 0xbaee, v2
	v_fmamk_f16 v95, v6, 0x3aee, v7
	v_pack_b32_f16 v8, v8, v14
	v_pack_b32_f16 v12, v32, v12
	;; [unrolled: 1-line block ×9, first 2 shown]
	ds_store_2addr_b32 v67, v8, v12 offset1:11
	ds_store_b32 v67, v11 offset:88
	ds_store_2addr_b32 v66, v14, v26 offset1:11
	ds_store_b32 v66, v3 offset:88
	;; [unrolled: 2-line block ×3, first 2 shown]
	s_and_saveexec_b32 s0, vcc_lo
	s_cbranch_execz .LBB0_5
; %bb.4:
	v_mul_f16_e32 v0, 0x3aee, v6
	v_add_f16_e32 v3, v10, v16
	v_mad_u16 v6, v63, 33, v64
	v_add_f16_e32 v4, v9, v4
	v_mul_f16_e32 v5, 0x3aee, v5
	v_sub_f16_e32 v0, v7, v0
	v_add_f16_e32 v3, v3, v15
	v_and_b32_e32 v6, 0xffff, v6
	v_add_f16_e32 v1, v4, v1
	v_add_f16_e32 v2, v5, v2
	s_delay_alu instid0(VALU_DEP_3) | instskip(NEXT) | instid1(VALU_DEP_3)
	v_lshlrev_b32_e32 v4, 2, v6
	v_pack_b32_f16 v1, v1, v3
	s_delay_alu instid0(VALU_DEP_3)
	v_pack_b32_f16 v0, v2, v0
	v_perm_b32 v2, v95, v94, 0x5040100
	ds_store_2addr_b32 v4, v1, v0 offset1:11
	ds_store_b32 v4, v2 offset:88
.LBB0_5:
	s_wait_alu 0xfffe
	s_or_b32 exec_lo, exec_lo, s0
	v_and_b32_e32 v0, 0xff, v55
	global_wb scope:SCOPE_SE
	s_wait_dscnt 0x0
	s_barrier_signal -1
	s_barrier_wait -1
	global_inv scope:SCOPE_SE
	v_mul_lo_u16 v0, 0xf9, v0
	v_add_nc_u32_e32 v16, 0x400, v38
	v_add_nc_u32_e32 v10, 0x800, v38
	;; [unrolled: 1-line block ×4, first 2 shown]
	v_lshrrev_b16 v33, 13, v0
	v_add_nc_u32_e32 v34, 0xa00, v38
	s_delay_alu instid0(VALU_DEP_2) | instskip(SKIP_1) | instid1(VALU_DEP_2)
	v_mul_lo_u16 v0, v33, 33
	v_and_b32_e32 v33, 0xffff, v33
	v_sub_nc_u16 v0, v55, v0
	s_delay_alu instid0(VALU_DEP_2) | instskip(NEXT) | instid1(VALU_DEP_2)
	v_mul_u32_u24_e32 v33, 0x16b, v33
	v_and_b32_e32 v30, 0xff, v0
	s_delay_alu instid0(VALU_DEP_1) | instskip(NEXT) | instid1(VALU_DEP_3)
	v_mad_co_u64_u32 v[8:9], null, v30, 40, s[10:11]
	v_add_lshl_u32 v76, v33, v30, 2
	s_clause 0x2
	global_load_b128 v[4:7], v[8:9], off offset:88
	global_load_b128 v[0:3], v[8:9], off offset:104
	global_load_b64 v[26:27], v[8:9], off offset:120
	ds_load_2addr_b32 v[8:9], v38 offset1:132
	ds_load_b32 v31, v38 offset:5280
	ds_load_2addr_b32 v[28:29], v16 offset0:8 offset1:140
	ds_load_2addr_b32 v[14:15], v10 offset0:16 offset1:148
	;; [unrolled: 1-line block ×4, first 2 shown]
	v_add_nc_u32_e32 v102, 0x400, v76
	global_wb scope:SCOPE_SE
	s_wait_loadcnt_dscnt 0x0
	s_barrier_signal -1
	s_barrier_wait -1
	global_inv scope:SCOPE_SE
	v_lshrrev_b32_e32 v36, 16, v9
	v_lshrrev_b32_e32 v37, 16, v31
	;; [unrolled: 1-line block ×17, first 2 shown]
	v_mul_f16_e32 v96, v36, v93
	v_mul_f16_e32 v97, v9, v93
	v_lshrrev_b32_e32 v91, 16, v6
	v_lshrrev_b32_e32 v89, 16, v0
	;; [unrolled: 1-line block ×3, first 2 shown]
	v_mul_f16_e32 v98, v78, v92
	v_mul_f16_e32 v99, v28, v92
	v_mul_f16_e32 v108, v12, v88
	v_mul_f16_e32 v110, v13, v87
	v_mul_f16_e32 v113, v83, v84
	v_mul_f16_e32 v115, v37, v85
	v_fma_f16 v9, v9, v4, -v96
	v_fmac_f16_e32 v97, v36, v4
	v_lshrrev_b32_e32 v90, 16, v7
	v_mul_f16_e32 v116, v31, v85
	v_mul_f16_e32 v100, v79, v91
	;; [unrolled: 1-line block ×8, first 2 shown]
	v_fma_f16 v28, v28, v5, -v98
	v_fmac_f16_e32 v99, v78, v5
	v_fmac_f16_e32 v108, v30, v1
	;; [unrolled: 1-line block ×3, first 2 shown]
	v_fma_f16 v11, v11, v26, -v113
	v_fma_f16 v30, v31, v27, -v115
	v_add_f16_e32 v31, v8, v9
	v_add_f16_e32 v33, v35, v97
	v_mul_f16_e32 v103, v80, v90
	v_mul_f16_e32 v104, v14, v90
	;; [unrolled: 1-line block ×4, first 2 shown]
	v_fmac_f16_e32 v116, v37, v27
	v_fma_f16 v29, v29, v6, -v100
	v_fmac_f16_e32 v101, v79, v6
	v_fmac_f16_e32 v106, v81, v0
	v_fma_f16 v10, v10, v3, -v111
	v_add_f16_e32 v79, v28, v11
	v_sub_f16_e32 v81, v28, v11
	v_add_f16_e32 v28, v31, v28
	v_add_f16_e32 v31, v33, v99
	v_fma_f16 v14, v14, v7, -v103
	v_fmac_f16_e32 v104, v80, v7
	v_fma_f16 v15, v15, v0, -v105
	v_fma_f16 v12, v12, v1, -v107
	;; [unrolled: 1-line block ×3, first 2 shown]
	v_fmac_f16_e32 v112, v82, v3
	v_fmac_f16_e32 v114, v83, v26
	v_add_f16_e32 v36, v9, v30
	v_sub_f16_e32 v9, v9, v30
	v_sub_f16_e32 v78, v97, v116
	v_add_f16_e32 v37, v97, v116
	v_add_f16_e32 v83, v29, v10
	v_sub_f16_e32 v97, v29, v10
	v_add_f16_e32 v28, v28, v29
	v_add_f16_e32 v29, v31, v101
	;; [unrolled: 1-line block ×3, first 2 shown]
	v_sub_f16_e32 v82, v99, v114
	v_sub_f16_e32 v98, v101, v112
	;; [unrolled: 1-line block ×6, first 2 shown]
	v_mul_f16_e32 v33, 0xb853, v78
	v_mul_f16_e32 v99, 0xb853, v9
	;; [unrolled: 1-line block ×10, first 2 shown]
	v_add_f16_e32 v100, v14, v13
	v_add_f16_e32 v14, v28, v14
	;; [unrolled: 1-line block ×7, first 2 shown]
	v_mul_f16_e32 v123, 0xbb47, v82
	v_mul_f16_e32 v124, 0xbb47, v81
	;; [unrolled: 1-line block ×5, first 2 shown]
	v_mul_f16_e64 v128, 0x3482, v81
	v_mul_f16_e64 v129, 0x3beb, v82
	;; [unrolled: 1-line block ×3, first 2 shown]
	v_mul_f16_e32 v82, 0x3853, v82
	v_mul_f16_e32 v81, 0x3853, v81
	v_mul_f16_e64 v131, 0xbbeb, v98
	v_mul_f16_e64 v132, 0xbbeb, v97
	;; [unrolled: 1-line block ×8, first 2 shown]
	v_mul_f16_e32 v98, 0xba0c, v98
	v_mul_f16_e32 v97, 0xba0c, v97
	v_mul_f16_e64 v139, 0xba0c, v105
	v_mul_f16_e64 v140, 0xba0c, v103
	;; [unrolled: 1-line block ×6, first 2 shown]
	v_mul_f16_e32 v105, 0x3b47, v105
	v_mul_f16_e64 v145, 0xb853, v103
	v_mul_f16_e64 v146, 0xb482, v103
	v_mul_f16_e32 v103, 0x3b47, v103
	v_mul_f16_e64 v147, 0xb482, v109
	v_mul_f16_e64 v148, 0x3853, v109
	;; [unrolled: 1-line block ×4, first 2 shown]
	v_mul_f16_e32 v109, 0xbbeb, v109
	v_mul_f16_e64 v151, 0xb482, v113
	v_mul_f16_e64 v152, 0x3853, v113
	v_mul_f16_e64 v153, 0xba0c, v113
	v_mul_f16_e64 v154, 0x3b47, v113
	v_mul_f16_e32 v113, 0xbbeb, v113
	v_fma_f16 v31, v36, 0x3abb, -v33
	v_fmamk_f16 v101, v37, 0x3abb, v99
	v_fmac_f16_e32 v33, 0x3abb, v36
	v_fma_f16 v99, v37, 0x3abb, -v99
	v_fma_f16 v155, v36, 0x36a6, -v117
	v_fma_f16 v156, 0x36a6, v37, v118
	v_fmac_f16_e32 v117, 0x36a6, v36
	v_fma_f16 v118, v37, 0x36a6, -v118
	v_fma_f16 v157, v36, 0xb08e, -v119
	v_fma_f16 v158, 0xb08e, v37, v120
	;; [unrolled: 4-line block ×3, first 2 shown]
	v_fmac_f16_e32 v121, 0xb93d, v36
	v_fma_f16 v161, v36, 0xbbad, -v78
	v_fma_f16 v162, 0xbbad, v37, v9
	v_fmac_f16_e32 v78, 0xbbad, v36
	v_fma_f16 v122, v37, 0xb93d, -v122
	v_fma_f16 v9, v37, 0xbbad, -v9
	v_add_f16_e32 v14, v14, v15
	v_add_f16_e32 v15, v28, v106
	v_fma_f16 v36, v79, 0x36a6, -v123
	v_fmamk_f16 v37, v80, 0x36a6, v124
	v_fmac_f16_e32 v123, 0x36a6, v79
	v_fma_f16 v124, v80, 0x36a6, -v124
	v_fma_f16 v163, v79, 0xb93d, -v125
	v_fma_f16 v164, 0xb93d, v80, v126
	v_fmac_f16_e32 v125, 0xb93d, v79
	v_fma_f16 v126, v80, 0xb93d, -v126
	v_fma_f16 v165, v79, 0xbbad, -v127
	v_fma_f16 v166, 0xbbad, v80, v128
	;; [unrolled: 4-line block ×3, first 2 shown]
	v_fmac_f16_e64 v129, 0xb08e, v79
	v_fma_f16 v130, v80, 0xb08e, -v130
	v_fma_f16 v169, v79, 0x3abb, -v82
	v_fma_f16 v170, 0x3abb, v80, v81
	v_fmac_f16_e32 v82, 0x3abb, v79
	v_fma_f16 v79, v80, 0x3abb, -v81
	v_fma_f16 v80, v83, 0xb08e, -v131
	v_fma_f16 v81, 0xb08e, v96, v132
	v_fmac_f16_e64 v131, 0xb08e, v83
	v_fma_f16 v132, v96, 0xb08e, -v132
	v_fma_f16 v171, v83, 0xbbad, -v133
	v_fma_f16 v172, 0xbbad, v96, v134
	v_fmac_f16_e64 v133, 0xbbad, v83
	;; [unrolled: 4-line block ×4, first 2 shown]
	v_fma_f16 v138, v96, 0x3abb, -v138
	v_fma_f16 v177, v83, 0xb93d, -v98
	v_fma_f16 v178, 0xb93d, v96, v97
	v_fmac_f16_e32 v98, 0xb93d, v83
	v_fma_f16 v83, v96, 0xb93d, -v97
	v_fma_f16 v96, v100, 0xb93d, -v139
	v_fmac_f16_e64 v139, 0xb93d, v100
	v_fma_f16 v97, v100, 0xb08e, -v141
	v_fmac_f16_e64 v141, 0xb08e, v100
	;; [unrolled: 2-line block ×4, first 2 shown]
	v_fma_f16 v181, v100, 0x36a6, -v105
	v_fmac_f16_e32 v105, 0x36a6, v100
	v_fma_f16 v100, 0xb93d, v107, v140
	v_fma_f16 v140, v107, 0xb93d, -v140
	v_fma_f16 v182, 0xb08e, v107, v142
	v_fma_f16 v142, v107, 0xb08e, -v142
	;; [unrolled: 2-line block ×5, first 2 shown]
	v_fma_f16 v107, v111, 0xbbad, -v147
	v_fmac_f16_e64 v147, 0xbbad, v111
	v_fma_f16 v186, v111, 0x3abb, -v148
	v_fmac_f16_e64 v148, 0x3abb, v111
	;; [unrolled: 2-line block ×4, first 2 shown]
	v_fma_f16 v189, v111, 0xb08e, -v109
	v_fmac_f16_e32 v109, 0xb08e, v111
	v_fma_f16 v111, 0xbbad, v115, v151
	v_fma_f16 v151, v115, 0xbbad, -v151
	v_fma_f16 v190, 0x3abb, v115, v152
	v_fma_f16 v152, v115, 0x3abb, -v152
	v_fma_f16 v191, 0xb93d, v115, v153
	v_fma_f16 v153, v115, 0xb93d, -v153
	v_fma_f16 v192, 0x36a6, v115, v154
	v_fma_f16 v154, v115, 0x36a6, -v154
	v_fma_f16 v193, 0xb08e, v115, v113
	v_fma_f16 v113, v115, 0xb08e, -v113
	v_add_f16_e32 v31, v8, v31
	v_add_f16_e32 v33, v8, v33
	v_add_f16_e64 v115, v8, v155
	v_add_f16_e32 v117, v8, v117
	v_add_f16_e64 v155, v8, v157
	;; [unrolled: 2-line block ×4, first 2 shown]
	v_add_f16_e32 v8, v8, v78
	v_add_f16_e32 v29, v35, v101
	;; [unrolled: 1-line block ×3, first 2 shown]
	v_add_f16_e64 v99, v35, v156
	v_add_f16_e32 v101, v35, v118
	v_add_f16_e64 v104, v35, v158
	v_add_f16_e32 v118, v35, v120
	v_add_f16_e64 v120, v35, v160
	v_add_f16_e64 v156, v35, v162
	v_add_f16_e32 v122, v35, v122
	v_add_f16_e32 v9, v35, v9
	;; [unrolled: 1-line block ×8, first 2 shown]
	v_add_f16_e64 v35, v163, v115
	v_add_f16_e64 v36, v164, v99
	v_add_f16_e32 v37, v125, v117
	v_add_f16_e32 v78, v126, v101
	v_add_f16_e64 v99, v165, v155
	v_add_f16_e64 v101, v166, v104
	v_add_f16_e32 v104, v127, v119
	v_add_f16_e64 v106, v128, v118
	v_add_f16_e64 v115, v167, v157
	;; [unrolled: 1-line block ×7, first 2 shown]
	v_add_f16_e32 v8, v82, v8
	v_add_f16_e32 v9, v79, v9
	;; [unrolled: 1-line block ×6, first 2 shown]
	v_add_f16_e64 v29, v131, v31
	v_add_f16_e64 v31, v132, v33
	;; [unrolled: 1-line block ×16, first 2 shown]
	v_add_f16_e32 v8, v98, v8
	v_add_f16_e32 v9, v83, v9
	;; [unrolled: 1-line block ×6, first 2 shown]
	v_add_f16_e64 v28, v139, v29
	v_add_f16_e64 v29, v140, v31
	v_add_f16_e32 v31, v97, v33
	v_add_f16_e64 v33, v182, v35
	v_add_f16_e64 v35, v141, v36
	;; [unrolled: 1-line block ×13, first 2 shown]
	v_add_f16_e32 v8, v105, v8
	v_add_f16_e32 v9, v103, v9
	;; [unrolled: 1-line block ×6, first 2 shown]
	v_add_f16_e64 v98, v147, v28
	v_add_f16_e64 v100, v151, v29
	;; [unrolled: 1-line block ×15, first 2 shown]
	v_add_f16_e32 v8, v109, v8
	v_add_f16_e32 v9, v113, v9
	v_add_f16_e64 v97, v153, v80
	v_add_f16_e32 v10, v10, v30
	v_add_f16_e32 v11, v11, v116
	v_pack_b32_f16 v12, v13, v14
	v_pack_b32_f16 v13, v15, v28
	;; [unrolled: 1-line block ×11, first 2 shown]
	ds_store_2addr_b32 v76, v13, v14 offset0:66 offset1:99
	ds_store_2addr_b32 v76, v15, v28 offset0:132 offset1:165
	;; [unrolled: 1-line block ×4, first 2 shown]
	ds_store_b32 v76, v31 offset:1320
	ds_store_2addr_b32 v76, v10, v12 offset1:33
	global_wb scope:SCOPE_SE
	s_wait_dscnt 0x0
	s_barrier_signal -1
	s_barrier_wait -1
	global_inv scope:SCOPE_SE
	ds_load_2addr_b32 v[30:31], v38 offset1:132
	ds_load_2addr_b32 v[36:37], v16 offset0:107 offset1:239
	ds_load_2addr_b32 v[34:35], v34 offset0:86 offset1:218
	;; [unrolled: 1-line block ×3, first 2 shown]
	v_add_co_u32 v28, s0, s8, v38
	s_wait_alu 0xf1ff
	v_add_co_ci_u32_e64 v29, null, s9, 0, s0
	v_cmp_gt_u16_e64 s0, 0x63, v55
	s_delay_alu instid0(VALU_DEP_1)
	s_and_saveexec_b32 s1, s0
	s_cbranch_execz .LBB0_7
; %bb.6:
	ds_load_b32 v96, v38 offset:1056
	ds_load_b32 v99, v38 offset:2508
	;; [unrolled: 1-line block ×4, first 2 shown]
	s_wait_dscnt 0x3
	v_lshrrev_b32_e32 v97, 16, v96
	s_wait_dscnt 0x2
	v_lshrrev_b32_e32 v101, 16, v99
	;; [unrolled: 2-line block ×4, first 2 shown]
.LBB0_7:
	s_wait_alu 0xfffe
	s_or_b32 exec_lo, exec_lo, s1
	v_mad_co_u64_u32 v[8:9], null, v55, 12, s[10:11]
	s_wait_dscnt 0x1
	v_lshrrev_b32_e32 v103, 16, v34
	s_wait_dscnt 0x0
	v_lshrrev_b32_e32 v104, 16, v32
	v_lshrrev_b32_e32 v106, 16, v37
	;; [unrolled: 1-line block ×5, first 2 shown]
	s_clause 0x1
	global_load_b96 v[14:16], v[8:9], off offset:1408
	global_load_b96 v[11:13], v[8:9], off offset:2992
	v_add_nc_u32_e32 v8, 0xffffff9d, v55
	v_lshrrev_b32_e32 v105, 16, v31
	s_delay_alu instid0(VALU_DEP_2) | instskip(SKIP_1) | instid1(VALU_DEP_2)
	v_cndmask_b32_e64 v8, v8, v77, s0
	v_lshrrev_b32_e32 v77, 16, v36
	v_mul_i32_i24_e32 v9, 12, v8
	v_mul_hi_i32_i24_e32 v10, 12, v8
	s_delay_alu instid0(VALU_DEP_2) | instskip(SKIP_1) | instid1(VALU_DEP_2)
	v_add_co_u32 v8, s1, s10, v9
	s_wait_alu 0xf1ff
	v_add_co_ci_u32_e64 v9, s1, s11, v10, s1
	global_load_b96 v[8:10], v[8:9], off offset:1408
	s_wait_loadcnt 0x2
	v_lshrrev_b32_e32 v83, 16, v14
	v_lshrrev_b32_e32 v82, 16, v15
	;; [unrolled: 1-line block ×3, first 2 shown]
	s_wait_loadcnt 0x1
	v_lshrrev_b32_e32 v80, 16, v11
	v_lshrrev_b32_e32 v79, 16, v12
	;; [unrolled: 1-line block ×3, first 2 shown]
	v_mul_f16_e32 v109, v77, v83
	v_mul_f16_e32 v110, v36, v83
	;; [unrolled: 1-line block ×12, first 2 shown]
	v_fma_f16 v109, v36, v14, -v109
	v_fmac_f16_e32 v110, v77, v14
	v_fma_f16 v34, v34, v15, -v111
	v_fmac_f16_e32 v112, v103, v15
	;; [unrolled: 2-line block ×6, first 2 shown]
	s_wait_loadcnt 0x0
	v_lshrrev_b32_e32 v37, 16, v8
	v_lshrrev_b32_e32 v77, 16, v9
	;; [unrolled: 1-line block ×3, first 2 shown]
	v_sub_f16_e32 v34, v30, v34
	v_sub_f16_e32 v104, v102, v112
	;; [unrolled: 1-line block ×8, first 2 shown]
	v_mul_f16_e32 v112, v101, v37
	v_mul_f16_e32 v32, v99, v37
	;; [unrolled: 1-line block ×6, first 2 shown]
	v_fma_f16 v118, v30, 2.0, -v34
	v_fma_f16 v102, v102, 2.0, -v104
	;; [unrolled: 1-line block ×4, first 2 shown]
	v_add_f16_e32 v106, v104, v106
	v_fma_f16 v119, v31, 2.0, -v35
	v_fma_f16 v105, v105, 2.0, -v108
	;; [unrolled: 1-line block ×4, first 2 shown]
	v_sub_f16_e32 v107, v34, v107
	v_sub_f16_e32 v111, v35, v111
	v_add_f16_e32 v33, v108, v33
	v_fma_f16 v30, v99, v8, -v112
	v_fmac_f16_e32 v32, v101, v8
	v_fma_f16 v98, v98, v9, -v113
	v_fmac_f16_e32 v114, v100, v9
	;; [unrolled: 2-line block ×3, first 2 shown]
	v_sub_f16_e32 v95, v118, v109
	v_sub_f16_e32 v99, v102, v110
	v_fma_f16 v101, v104, 2.0, -v106
	v_sub_f16_e32 v104, v119, v31
	v_sub_f16_e32 v103, v105, v103
	v_fma_f16 v100, v34, 2.0, -v107
	v_fma_f16 v109, v35, 2.0, -v111
	;; [unrolled: 1-line block ×3, first 2 shown]
	v_pack_b32_f16 v106, v107, v106
	v_pack_b32_f16 v107, v111, v33
	v_sub_f16_e32 v33, v96, v98
	v_sub_f16_e32 v31, v97, v114
	;; [unrolled: 1-line block ×4, first 2 shown]
	v_fma_f16 v98, v118, 2.0, -v95
	v_fma_f16 v102, v102, 2.0, -v99
	;; [unrolled: 1-line block ×4, first 2 shown]
	v_pack_b32_f16 v100, v100, v101
	v_pack_b32_f16 v99, v95, v99
	v_sub_f16_e32 v94, v33, v34
	v_add_f16_e32 v95, v31, v35
	v_pack_b32_f16 v98, v98, v102
	v_pack_b32_f16 v102, v110, v105
	;; [unrolled: 1-line block ×4, first 2 shown]
	ds_store_b32 v38, v100 offset:1452
	ds_store_b32 v38, v99 offset:2904
	ds_store_b32 v38, v106 offset:4356
	ds_store_2addr_b32 v38, v98, v102 offset1:132
	ds_store_b32 v38, v101 offset:1980
	ds_store_b32 v38, v103 offset:3432
	;; [unrolled: 1-line block ×3, first 2 shown]
	s_and_saveexec_b32 s1, s0
	s_cbranch_execz .LBB0_9
; %bb.8:
	v_fma_f16 v96, v96, 2.0, -v33
	v_fma_f16 v30, v30, 2.0, -v35
	;; [unrolled: 1-line block ×6, first 2 shown]
	v_sub_f16_e32 v30, v96, v30
	s_delay_alu instid0(VALU_DEP_4) | instskip(NEXT) | instid1(VALU_DEP_3)
	v_sub_f16_e32 v32, v35, v32
	v_pack_b32_f16 v31, v33, v31
	s_delay_alu instid0(VALU_DEP_3) | instskip(NEXT) | instid1(VALU_DEP_3)
	v_fma_f16 v34, v96, 2.0, -v30
	v_fma_f16 v35, v35, 2.0, -v32
	v_pack_b32_f16 v30, v30, v32
	v_perm_b32 v32, v95, v94, 0x5040100
	s_delay_alu instid0(VALU_DEP_3)
	v_pack_b32_f16 v34, v34, v35
	ds_store_b32 v38, v34 offset:1056
	ds_store_b32 v38, v31 offset:2508
	;; [unrolled: 1-line block ×4, first 2 shown]
.LBB0_9:
	s_wait_alu 0xfffe
	s_or_b32 exec_lo, exec_lo, s1
	s_add_nc_u64 s[8:9], s[8:9], 0x16b0
	global_wb scope:SCOPE_SE
	s_wait_dscnt 0x0
	s_barrier_signal -1
	s_barrier_wait -1
	global_inv scope:SCOPE_SE
	s_clause 0xa
	global_load_b32 v30, v[28:29], off offset:5808
	global_load_b32 v31, v38, s[8:9] offset:528
	global_load_b32 v98, v38, s[8:9] offset:1584
	;; [unrolled: 1-line block ×10, first 2 shown]
	ds_load_2addr_b32 v[28:29], v38 offset1:132
	v_add_nc_u32_e32 v107, 0xc00, v38
	v_add_nc_u32_e32 v108, 0x1000, v38
	s_wait_dscnt 0x0
	v_lshrrev_b32_e32 v32, 16, v28
	v_lshrrev_b32_e32 v34, 16, v29
	s_wait_loadcnt 0xa
	v_lshrrev_b32_e32 v33, 16, v30
	s_wait_loadcnt 0x9
	;; [unrolled: 2-line block ×5, first 2 shown]
	v_lshrrev_b32_e32 v111, 16, v100
	v_mul_f16_e32 v96, v32, v33
	v_mul_f16_e32 v33, v28, v33
	;; [unrolled: 1-line block ×4, first 2 shown]
	s_wait_loadcnt 0x3
	v_lshrrev_b32_e32 v115, 16, v103
	v_fma_f16 v28, v28, v30, -v96
	v_fmac_f16_e32 v33, v32, v30
	v_fma_f16 v29, v29, v31, -v97
	v_fmac_f16_e32 v35, v34, v31
	v_add_nc_u32_e32 v32, 0x800, v38
	v_lshrrev_b32_e32 v112, 16, v101
	v_pack_b32_f16 v28, v28, v33
	v_add_nc_u32_e32 v33, 0x400, v38
	v_pack_b32_f16 v29, v29, v35
	v_lshrrev_b32_e32 v113, 16, v102
	s_wait_loadcnt 0x2
	v_lshrrev_b32_e32 v116, 16, v104
	s_wait_loadcnt 0x1
	;; [unrolled: 2-line block ×3, first 2 shown]
	v_lshrrev_b32_e32 v118, 16, v106
	ds_store_2addr_b32 v38, v28, v29 offset1:132
	ds_load_2addr_b32 v[28:29], v33 offset0:8 offset1:140
	ds_load_2addr_b32 v[30:31], v32 offset0:16 offset1:148
	;; [unrolled: 1-line block ×4, first 2 shown]
	ds_load_b32 v114, v38 offset:5280
	s_wait_dscnt 0x4
	v_lshrrev_b32_e32 v119, 16, v28
	v_lshrrev_b32_e32 v121, 16, v29
	s_wait_dscnt 0x3
	v_lshrrev_b32_e32 v123, 16, v30
	v_lshrrev_b32_e32 v125, 16, v31
	;; [unrolled: 3-line block ×4, first 2 shown]
	s_wait_dscnt 0x0
	v_lshrrev_b32_e32 v135, 16, v114
	v_mul_f16_e32 v120, v28, v115
	v_mul_f16_e32 v122, v29, v109
	;; [unrolled: 1-line block ×8, first 2 shown]
	v_mul_f16_e64 v128, v34, v112
	v_mul_f16_e64 v130, v35, v113
	v_mul_f16_e32 v112, v127, v112
	v_mul_f16_e64 v113, v129, v113
	v_mul_f16_e64 v132, v96, v116
	;; [unrolled: 1-line block ×7, first 2 shown]
	v_fmac_f16_e32 v120, v119, v103
	v_fmac_f16_e32 v122, v121, v98
	v_fma_f16 v28, v28, v103, -v115
	v_fma_f16 v29, v29, v98, -v109
	v_fmac_f16_e32 v124, v123, v99
	v_fmac_f16_e32 v126, v125, v100
	v_fma_f16 v30, v30, v99, -v110
	v_fma_f16 v31, v31, v100, -v111
	v_fmac_f16_e64 v128, v127, v101
	v_fmac_f16_e64 v130, v129, v102
	v_fma_f16 v34, v34, v101, -v112
	v_fma_f16 v35, v35, v102, -v113
	v_fmac_f16_e64 v132, v131, v104
	v_fmac_f16_e64 v134, v133, v105
	v_fma_f16 v96, v96, v104, -v116
	v_fma_f16 v97, v97, v105, -v117
	v_fmac_f16_e64 v136, v135, v106
	v_fma_f16 v98, v114, v106, -v118
	v_pack_b32_f16 v28, v28, v120
	v_pack_b32_f16 v29, v29, v122
	;; [unrolled: 1-line block ×9, first 2 shown]
	ds_store_2addr_b32 v33, v28, v29 offset0:8 offset1:140
	ds_store_2addr_b32 v32, v30, v31 offset0:16 offset1:148
	;; [unrolled: 1-line block ×4, first 2 shown]
	ds_store_b32 v38, v98 offset:5280
	global_wb scope:SCOPE_SE
	s_wait_dscnt 0x0
	s_barrier_signal -1
	s_barrier_wait -1
	global_inv scope:SCOPE_SE
	ds_load_2addr_b32 v[34:35], v38 offset1:132
	ds_load_b32 v30, v38 offset:5280
	ds_load_2addr_b32 v[96:97], v33 offset0:8 offset1:140
	ds_load_2addr_b32 v[28:29], v108 offset0:32 offset1:164
	;; [unrolled: 1-line block ×4, first 2 shown]
	v_add_nc_u32_e32 v102, 0xe00, v38
	global_wb scope:SCOPE_SE
	s_wait_dscnt 0x0
	s_barrier_signal -1
	s_barrier_wait -1
	global_inv scope:SCOPE_SE
	v_pk_add_f16 v31, v34, v35
	v_pk_add_f16 v103, v30, v35
	v_pk_add_f16 v35, v35, v30 neg_lo:[0,1] neg_hi:[0,1]
	v_pk_add_f16 v105, v29, v96
	v_pk_add_f16 v106, v96, v29 neg_lo:[0,1] neg_hi:[0,1]
	v_pk_add_f16 v111, v100, v99
	v_pk_add_f16 v31, v31, v96
	;; [unrolled: 1-line block ×3, first 2 shown]
	v_pk_add_f16 v108, v97, v28 neg_lo:[0,1] neg_hi:[0,1]
	v_pk_add_f16 v109, v101, v98
	v_pk_add_f16 v110, v98, v101 neg_lo:[0,1] neg_hi:[0,1]
	v_pk_add_f16 v112, v99, v100 neg_lo:[0,1] neg_hi:[0,1]
	v_pk_mul_f16 v96, 0xb853, v35 op_sel_hi:[0,1]
	v_lshrrev_b32_e32 v114, 16, v35
	v_lshrrev_b32_e32 v115, 16, v103
	;; [unrolled: 1-line block ×3, first 2 shown]
	v_pk_mul_f16 v128, 0xbbad, v103 op_sel_hi:[0,1]
	v_pk_add_f16 v31, v31, v97
	v_pk_mul_f16 v116, 0xbb47, v106 op_sel_hi:[0,1]
	v_lshrrev_b32_e32 v117, 16, v106
	v_lshrrev_b32_e32 v118, 16, v105
	v_pk_mul_f16 v119, 0xbbeb, v108 op_sel_hi:[0,1]
	v_lshrrev_b32_e32 v121, 16, v107
	v_pk_mul_f16 v122, 0xba0c, v110 op_sel_hi:[0,1]
	;; [unrolled: 2-line block ×3, first 2 shown]
	v_pk_fma_f16 v97, 0x3abb, v103, v96 op_sel:[0,0,1] op_sel_hi:[0,1,0]
	v_pk_fma_f16 v96, 0x3abb, v103, v96 op_sel:[0,0,1] op_sel_hi:[0,1,0] neg_lo:[0,0,1] neg_hi:[0,0,1]
	v_mul_f16_e64 v133, 0xbb47, v114
	v_mul_f16_e64 v134, 0x36a6, v115
	;; [unrolled: 1-line block ×4, first 2 shown]
	v_lshrrev_b32_e32 v120, 16, v108
	v_lshrrev_b32_e32 v123, 16, v110
	v_lshrrev_b32_e32 v126, 16, v112
	v_mul_f16_e32 v114, 0xba0c, v114
	v_mul_f16_e32 v115, 0xb93d, v115
	v_pk_mul_f16 v129, 0x3abb, v105 op_sel_hi:[0,1]
	v_pk_mul_f16 v132, 0xb08e, v111 op_sel_hi:[0,1]
	v_mul_f16_e64 v154, 0x3abb, v127
	v_mul_f16_e64 v156, 0xb93d, v127
	v_mul_f16_e32 v127, 0x36a6, v127
	v_pk_fma_f16 v157, 0xb482, v35, v128 op_sel:[0,0,1] op_sel_hi:[0,1,0]
	v_pk_add_f16 v31, v31, v98
	v_lshrrev_b32_e32 v104, 16, v34
	v_pk_mul_f16 v130, 0xb93d, v107 op_sel_hi:[0,1]
	v_pk_mul_f16 v131, 0x36a6, v109 op_sel_hi:[0,1]
	v_pk_fma_f16 v137, 0x36a6, v105, v116 op_sel:[0,0,1] op_sel_hi:[0,1,0]
	v_pk_fma_f16 v116, 0x36a6, v105, v116 op_sel:[0,0,1] op_sel_hi:[0,1,0] neg_lo:[0,0,1] neg_hi:[0,0,1]
	v_mul_f16_e64 v138, 0xba0c, v117
	v_mul_f16_e64 v139, 0xb93d, v118
	;; [unrolled: 1-line block ×4, first 2 shown]
	v_mul_f16_e32 v118, 0xb08e, v118
	v_pk_fma_f16 v142, 0xb08e, v107, v119 op_sel:[0,0,1] op_sel_hi:[0,1,0]
	v_pk_fma_f16 v119, 0xb08e, v107, v119 op_sel:[0,0,1] op_sel_hi:[0,1,0] neg_lo:[0,0,1] neg_hi:[0,0,1]
	v_mul_f16_e64 v144, 0xbbad, v121
	v_mul_f16_e64 v146, 0x36a6, v121
	v_mul_f16_e32 v121, 0x3abb, v121
	v_pk_fma_f16 v147, 0xb93d, v109, v122 op_sel:[0,0,1] op_sel_hi:[0,1,0]
	v_pk_fma_f16 v122, 0xb93d, v109, v122 op_sel:[0,0,1] op_sel_hi:[0,1,0] neg_lo:[0,0,1] neg_hi:[0,0,1]
	v_mul_f16_e64 v149, 0xb08e, v124
	v_mul_f16_e64 v151, 0x3abb, v124
	v_mul_f16_e32 v124, 0xbbad, v124
	v_pk_fma_f16 v152, 0xbbad, v111, v125 op_sel:[0,0,1] op_sel_hi:[0,1,0]
	v_pk_fma_f16 v125, 0xbbad, v111, v125 op_sel:[0,0,1] op_sel_hi:[0,1,0] neg_lo:[0,0,1] neg_hi:[0,0,1]
	v_bfi_b32 v98, 0xffff, v97, v96
	v_fma_f16 v162, 0x36a6, v103, v133
	v_fma_f16 v163, 0x3b47, v35, v134
	v_fma_f16 v133, v103, 0x36a6, -v133
	v_fmac_f16_e64 v134, 0xbb47, v35
	v_fma_f16 v164, 0xb08e, v103, v135
	v_fma_f16 v165, 0x3beb, v35, v136
	v_alignbit_b32 v113, s0, v34, 16
	v_mul_f16_e32 v117, 0x3beb, v117
	v_mul_f16_e64 v143, 0x3482, v120
	v_mul_f16_e64 v145, 0x3b47, v120
	v_mul_f16_e32 v120, 0xb853, v120
	v_mul_f16_e64 v148, 0x3beb, v123
	v_mul_f16_e64 v150, 0xb853, v123
	;; [unrolled: 3-line block ×3, first 2 shown]
	v_mul_f16_e32 v126, 0x3b47, v126
	v_pk_fma_f16 v128, 0xb482, v35, v128 op_sel:[0,0,1] op_sel_hi:[0,1,0] neg_lo:[0,1,0] neg_hi:[0,1,0]
	v_fma_f16 v166, 0xb93d, v103, v114
	v_fma_f16 v167, 0x3a0c, v35, v115
	v_pk_fma_f16 v158, 0x3853, v106, v129 op_sel:[0,0,1] op_sel_hi:[0,1,0]
	v_pk_fma_f16 v161, 0xbbeb, v112, v132 op_sel:[0,0,1] op_sel_hi:[0,1,0]
	v_pk_fma_f16 v132, 0xbbeb, v112, v132 op_sel:[0,0,1] op_sel_hi:[0,1,0] neg_lo:[0,1,0] neg_hi:[0,1,0]
	v_fma_f16 v135, v103, 0xb08e, -v135
	v_fma_f16 v103, v103, 0xb93d, -v114
	v_fma_f16 v183, 0xb853, v112, v154
	v_fmac_f16_e64 v154, 0x3853, v112
	v_fma_f16 v185, 0x3a0c, v112, v156
	v_fmac_f16_e64 v156, 0xba0c, v112
	v_fma_f16 v187, 0xbb47, v112, v127
	v_fmac_f16_e32 v127, 0x3b47, v112
	v_alignbit_b32 v112, s0, v157, 16
	v_fmac_f16_e64 v136, 0xbbeb, v35
	v_fmac_f16_e32 v115, 0xba0c, v35
	v_pk_add_f16 v31, v31, v99
	v_pk_fma_f16 v129, 0x3853, v106, v129 op_sel:[0,0,1] op_sel_hi:[0,1,0] neg_lo:[0,1,0] neg_hi:[0,1,0]
	v_pk_fma_f16 v159, 0xba0c, v108, v130 op_sel:[0,0,1] op_sel_hi:[0,1,0]
	v_pk_fma_f16 v130, 0xba0c, v108, v130 op_sel:[0,0,1] op_sel_hi:[0,1,0] neg_lo:[0,1,0] neg_hi:[0,1,0]
	v_pk_fma_f16 v160, 0x3b47, v110, v131 op_sel:[0,0,1] op_sel_hi:[0,1,0]
	v_pk_fma_f16 v131, 0x3b47, v110, v131 op_sel:[0,0,1] op_sel_hi:[0,1,0] neg_lo:[0,1,0] neg_hi:[0,1,0]
	v_bfi_b32 v35, 0xffff, v137, v116
	v_fma_f16 v114, 0xb93d, v105, v138
	v_fma_f16 v168, 0x3a0c, v106, v139
	v_fma_f16 v138, v105, 0xb93d, -v138
	v_fmac_f16_e64 v139, 0xba0c, v106
	v_fma_f16 v169, 0xbbad, v105, v140
	v_fma_f16 v170, 0xb482, v106, v141
	v_fmac_f16_e64 v141, 0x3482, v106
	v_fma_f16 v172, 0xbbeb, v106, v118
	v_fmac_f16_e32 v118, 0x3beb, v106
	v_bfi_b32 v106, 0xffff, v142, v119
	v_fma_f16 v173, 0xb482, v108, v144
	v_fmac_f16_e64 v144, 0x3482, v108
	v_fma_f16 v175, 0xbb47, v108, v146
	v_fmac_f16_e64 v146, 0x3b47, v108
	v_fma_f16 v177, 0x3853, v108, v121
	v_fmac_f16_e32 v121, 0xb853, v108
	v_bfi_b32 v108, 0xffff, v147, v122
	v_fma_f16 v178, 0xbbeb, v110, v149
	v_fmac_f16_e64 v149, 0x3beb, v110
	v_fma_f16 v180, 0x3853, v110, v151
	v_fmac_f16_e64 v151, 0xb853, v110
	v_fma_f16 v182, 0x3482, v110, v124
	v_fmac_f16_e32 v124, 0xb482, v110
	v_bfi_b32 v110, 0xffff, v152, v125
	v_bfi_b32 v96, 0xffff, v96, v97
	;; [unrolled: 1-line block ×6, first 2 shown]
	v_pk_add_f16 v98, v34, v98
	v_add_f16_e64 v99, v34, v162
	v_add_f16_e64 v125, v104, v163
	v_add_f16_e64 v133, v34, v133
	v_add_f16_e64 v134, v104, v134
	v_add_f16_e64 v137, v34, v164
	v_add_f16_e64 v142, v104, v165
	v_fma_f16 v140, v105, 0xbbad, -v140
	v_fma_f16 v171, 0xb08e, v105, v117
	v_fma_f16 v105, v105, 0xb08e, -v117
	v_fma_f16 v117, 0xbbad, v107, v143
	;; [unrolled: 2-line block ×10, first 2 shown]
	v_fma_f16 v111, v111, 0x36a6, -v126
	v_pk_add_f16 v126, v34, v128 op_sel:[1,0] op_sel_hi:[0,1]
	v_pk_add_f16 v113, v113, v157
	v_add_f16_e64 v147, v34, v166
	v_add_f16_e64 v152, v104, v167
	v_alignbit_b32 v128, s0, v158, 16
	v_add_f16_e32 v103, v34, v103
	v_pk_add_f16 v112, v34, v112
	v_add_f16_e64 v135, v34, v135
	v_add_f16_e64 v136, v104, v136
	v_add_f16_e32 v104, v104, v115
	v_pk_add_f16 v31, v31, v100
	v_pk_add_f16 v34, v34, v96
	;; [unrolled: 1-line block ×3, first 2 shown]
	v_add_f16_e32 v96, v114, v99
	v_add_f16_e64 v98, v168, v125
	v_add_f16_e64 v99, v138, v133
	;; [unrolled: 1-line block ×5, first 2 shown]
	v_pk_add_f16 v115, v129, v126
	v_pk_add_f16 v113, v158, v113
	v_add_f16_e64 v133, v171, v147
	v_add_f16_e64 v134, v172, v152
	v_alignbit_b32 v157, s0, v159, 16
	v_add_f16_e32 v103, v105, v103
	v_pk_add_f16 v105, v128, v112
	v_add_f16_e64 v126, v140, v135
	v_add_f16_e64 v129, v141, v136
	v_add_f16_e32 v104, v118, v104
	v_pk_add_f16 v31, v31, v101
	v_pk_add_f16 v34, v97, v34
	;; [unrolled: 1-line block ×3, first 2 shown]
	v_add_f16_e32 v96, v117, v96
	v_add_f16_e64 v97, v173, v98
	v_add_f16_e64 v98, v143, v99
	;; [unrolled: 1-line block ×5, first 2 shown]
	v_pk_add_f16 v112, v130, v115
	v_pk_add_f16 v113, v159, v113
	v_add_f16_e64 v115, v176, v133
	v_add_f16_e64 v117, v177, v134
	v_alignbit_b32 v188, s0, v160, 16
	v_pk_add_f16 v105, v157, v105
	v_add_f16_e64 v106, v145, v126
	v_add_f16_e64 v114, v146, v129
	v_add_f16_e32 v103, v107, v103
	v_add_f16_e32 v104, v121, v104
	v_pk_add_f16 v28, v31, v28
	v_pk_add_f16 v31, v108, v35
	v_add_f16_e32 v35, v120, v96
	v_add_f16_e64 v96, v178, v97
	v_add_f16_e64 v97, v148, v98
	;; [unrolled: 1-line block ×5, first 2 shown]
	v_pk_add_f16 v107, v131, v112
	v_pk_add_f16 v112, v160, v113
	;; [unrolled: 1-line block ×3, first 2 shown]
	v_add_f16_e64 v108, v181, v115
	v_add_f16_e64 v113, v182, v117
	v_alignbit_b32 v189, s0, v161, 16
	v_pk_add_f16 v105, v188, v105
	v_add_f16_e64 v101, v150, v106
	v_add_f16_e64 v106, v151, v114
	v_add_f16_e32 v103, v109, v103
	v_add_f16_e32 v104, v124, v104
	v_pk_add_f16 v28, v28, v29
	v_pk_add_f16 v29, v110, v31
	v_add_f16_e32 v31, v123, v35
	v_add_f16_e64 v35, v183, v96
	v_add_f16_e64 v99, v184, v99
	;; [unrolled: 1-line block ×3, first 2 shown]
	v_pk_add_f16 v34, v119, v34
	v_add_f16_e64 v108, v186, v108
	v_add_f16_e64 v110, v187, v113
	v_pk_add_f16 v107, v132, v107
	v_pk_add_f16 v109, v161, v112
	;; [unrolled: 1-line block ×3, first 2 shown]
	v_add_f16_e64 v101, v155, v101
	v_add_f16_e64 v106, v156, v106
	v_add_f16_e32 v103, v111, v103
	v_add_f16_e32 v104, v127, v104
	v_add_f16_e64 v96, v153, v97
	v_add_f16_e64 v97, v154, v98
	v_pk_add_f16 v28, v28, v30
	v_pack_b32_f16 v30, v99, v100
	v_pack_b32_f16 v31, v31, v35
	v_pk_add_f16 v98, v122, v34
	v_pack_b32_f16 v34, v108, v110
	v_alignbit_b32 v109, v109, v107, 16
	v_pack_b32_f16 v35, v105, v107
	v_pack_b32_f16 v99, v101, v106
	;; [unrolled: 1-line block ×4, first 2 shown]
	ds_store_2addr_b32 v62, v28, v29 offset1:1
	ds_store_2addr_b32 v62, v31, v30 offset0:2 offset1:3
	ds_store_b32 v62, v34 offset:16
	ds_store_2addr_b32 v62, v35, v109 offset0:5 offset1:6
	ds_store_2addr_b32 v62, v100, v99 offset0:7 offset1:8
	;; [unrolled: 1-line block ×3, first 2 shown]
	global_wb scope:SCOPE_SE
	s_wait_dscnt 0x0
	s_barrier_signal -1
	s_barrier_wait -1
	global_inv scope:SCOPE_SE
	ds_load_2addr_b32 v[30:31], v38 offset1:132
	ds_load_2addr_b32 v[28:29], v33 offset0:8 offset1:228
	ds_load_2addr_b32 v[34:35], v102 offset0:72 offset1:204
	;; [unrolled: 1-line block ×3, first 2 shown]
	ds_load_b32 v62, v38 offset:4928
	v_lshrrev_b32_e32 v99, 16, v98
	s_and_saveexec_b32 s1, vcc_lo
	s_cbranch_execz .LBB0_11
; %bb.10:
	ds_load_b32 v96, v38 offset:1584
	ds_load_b32 v98, v38 offset:3520
	;; [unrolled: 1-line block ×3, first 2 shown]
	s_wait_dscnt 0x2
	v_lshrrev_b32_e32 v97, 16, v96
	s_wait_dscnt 0x1
	v_lshrrev_b32_e32 v99, 16, v98
	;; [unrolled: 2-line block ×3, first 2 shown]
.LBB0_11:
	s_wait_alu 0xfffe
	s_or_b32 exec_lo, exec_lo, s1
	s_wait_dscnt 0x3
	v_lshrrev_b32_e32 v101, 16, v29
	s_wait_dscnt 0x2
	v_lshrrev_b32_e32 v102, 16, v34
	s_wait_dscnt 0x1
	v_lshrrev_b32_e32 v104, 16, v32
	v_lshrrev_b32_e32 v105, 16, v35
	v_lshrrev_b32_e32 v107, 16, v33
	v_mul_f16_e32 v108, v75, v101
	v_mul_f16_e32 v109, v74, v102
	v_mul_f16_e32 v75, v75, v29
	v_mul_f16_e32 v74, v74, v34
	s_wait_dscnt 0x0
	v_lshrrev_b32_e32 v110, 16, v62
	v_fmac_f16_e32 v108, v24, v29
	v_fmac_f16_e32 v109, v25, v34
	v_mul_f16_e32 v29, v73, v104
	v_mul_f16_e32 v34, v73, v32
	;; [unrolled: 1-line block ×4, first 2 shown]
	v_fma_f16 v24, v24, v101, -v75
	v_fmac_f16_e32 v29, v22, v32
	v_mul_f16_e32 v32, v71, v107
	v_fmac_f16_e32 v73, v23, v35
	v_fma_f16 v35, v23, v105, -v72
	v_mul_f16_e32 v23, v71, v33
	v_fma_f16 v34, v22, v104, -v34
	v_fmac_f16_e32 v32, v20, v33
	v_mul_f16_e32 v33, v70, v110
	v_mul_f16_e32 v70, v70, v62
	;; [unrolled: 1-line block ×3, first 2 shown]
	v_fma_f16 v71, v20, v107, -v23
	v_mul_f16_e32 v20, v69, v98
	v_fma_f16 v25, v25, v102, -v74
	v_fmac_f16_e32 v33, v21, v62
	v_fma_f16 v62, v21, v110, -v70
	v_fmac_f16_e32 v22, v18, v98
	v_add_f16_e32 v21, v108, v109
	v_fma_f16 v23, v18, v99, -v20
	v_mul_f16_e32 v18, v68, v94
	v_lshrrev_b32_e32 v100, 16, v30
	v_mul_f16_e32 v20, v68, v95
	v_fma_f16 v69, -0.5, v21, v30
	v_add_f16_e32 v68, v30, v108
	v_fma_f16 v21, v19, v95, -v18
	v_add_f16_e32 v18, v24, v25
	v_fmac_f16_e32 v20, v19, v94
	v_add_f16_e32 v19, v100, v24
	v_sub_f16_e32 v30, v24, v25
	v_add_f16_e32 v24, v29, v73
	v_fmac_f16_e32 v100, -0.5, v18
	v_sub_f16_e32 v18, v108, v109
	v_add_f16_e32 v72, v19, v25
	v_add_f16_e32 v19, v31, v29
	v_lshrrev_b32_e32 v103, 16, v31
	v_fmac_f16_e32 v31, -0.5, v24
	v_sub_f16_e32 v24, v34, v35
	v_fmamk_f16 v74, v18, 0x3aee, v100
	v_fmac_f16_e32 v100, 0xbaee, v18
	v_add_f16_e32 v18, v34, v35
	v_add_f16_e32 v75, v19, v73
	;; [unrolled: 1-line block ×3, first 2 shown]
	v_fmamk_f16 v94, v24, 0xbaee, v31
	v_fmac_f16_e32 v31, 0x3aee, v24
	v_add_f16_e32 v24, v103, v34
	v_fmac_f16_e32 v103, -0.5, v18
	v_sub_f16_e32 v18, v29, v73
	v_lshrrev_b32_e32 v106, 16, v28
	v_add_f16_e32 v25, v28, v32
	v_fmac_f16_e32 v28, -0.5, v19
	v_sub_f16_e32 v19, v71, v62
	v_add_f16_e32 v34, v24, v35
	v_fmamk_f16 v35, v18, 0x3aee, v103
	v_fmac_f16_e32 v103, 0xbaee, v18
	v_add_f16_e32 v18, v71, v62
	v_add_f16_e32 v68, v68, v109
	v_fmamk_f16 v70, v30, 0xbaee, v69
	v_add_f16_e32 v73, v25, v33
	v_fmamk_f16 v95, v19, 0xbaee, v28
	v_fmac_f16_e32 v28, 0x3aee, v19
	v_add_f16_e32 v19, v20, v22
	v_add_f16_e32 v71, v106, v71
	;; [unrolled: 1-line block ×3, first 2 shown]
	v_fmac_f16_e32 v106, -0.5, v18
	v_sub_f16_e32 v18, v32, v33
	v_fmac_f16_e32 v69, 0x3aee, v30
	v_fma_f16 v24, -0.5, v19, v96
	v_sub_f16_e32 v29, v23, v21
	v_fma_f16 v25, -0.5, v25, v97
	v_sub_f16_e32 v30, v22, v20
	v_add_f16_e32 v32, v71, v62
	v_pack_b32_f16 v62, v68, v72
	v_pack_b32_f16 v68, v70, v74
	v_fmamk_f16 v33, v18, 0x3aee, v106
	v_fmac_f16_e32 v106, 0xbaee, v18
	v_fmamk_f16 v18, v29, 0x3aee, v24
	v_fmamk_f16 v19, v30, 0xbaee, v25
	global_wb scope:SCOPE_SE
	s_barrier_signal -1
	s_barrier_wait -1
	global_inv scope:SCOPE_SE
	ds_store_2addr_b32 v67, v62, v68 offset1:11
	v_pack_b32_f16 v62, v69, v100
	v_pack_b32_f16 v34, v75, v34
	;; [unrolled: 1-line block ×7, first 2 shown]
	ds_store_b32 v67, v62 offset:88
	ds_store_2addr_b32 v66, v34, v35 offset1:11
	ds_store_b32 v66, v31 offset:88
	ds_store_2addr_b32 v65, v32, v33 offset1:11
	ds_store_b32 v65, v28 offset:88
	s_and_saveexec_b32 s1, vcc_lo
	s_cbranch_execz .LBB0_13
; %bb.12:
	v_mul_f16_e32 v28, 0x3aee, v30
	v_add_f16_e32 v23, v23, v97
	v_mad_u16 v30, v63, 33, v64
	v_add_f16_e32 v22, v96, v22
	v_mul_f16_e32 v29, 0x3aee, v29
	v_add_f16_e32 v25, v28, v25
	v_add_f16_e32 v21, v21, v23
	v_and_b32_e32 v23, 0xffff, v30
	v_add_f16_e32 v20, v20, v22
	v_sub_f16_e32 v22, v24, v29
	s_delay_alu instid0(VALU_DEP_3) | instskip(NEXT) | instid1(VALU_DEP_3)
	v_lshlrev_b32_e32 v23, 2, v23
	v_pack_b32_f16 v20, v20, v21
	s_delay_alu instid0(VALU_DEP_3)
	v_pack_b32_f16 v21, v22, v25
	v_perm_b32 v22, v19, v18, 0x5040100
	ds_store_2addr_b32 v23, v20, v21 offset1:11
	ds_store_b32 v23, v22 offset:88
.LBB0_13:
	s_wait_alu 0xfffe
	s_or_b32 exec_lo, exec_lo, s1
	v_add_nc_u32_e32 v20, 0x400, v38
	global_wb scope:SCOPE_SE
	s_wait_dscnt 0x0
	s_barrier_signal -1
	s_barrier_wait -1
	global_inv scope:SCOPE_SE
	ds_load_2addr_b32 v[22:23], v38 offset1:132
	ds_load_2addr_b32 v[24:25], v20 offset0:8 offset1:140
	v_add_nc_u32_e32 v28, 0x800, v38
	v_add_nc_u32_e32 v30, 0xc00, v38
	;; [unrolled: 1-line block ×3, first 2 shown]
	ds_load_b32 v34, v38 offset:5280
	ds_load_2addr_b32 v[28:29], v28 offset0:16 offset1:148
	ds_load_2addr_b32 v[30:31], v30 offset0:24 offset1:156
	;; [unrolled: 1-line block ×3, first 2 shown]
	global_wb scope:SCOPE_SE
	s_wait_dscnt 0x0
	s_barrier_signal -1
	s_barrier_wait -1
	global_inv scope:SCOPE_SE
	v_lshrrev_b32_e32 v62, 16, v23
	v_mul_f16_e32 v64, v93, v23
	v_lshrrev_b32_e32 v65, 16, v24
	v_lshrrev_b32_e32 v35, 16, v22
	;; [unrolled: 1-line block ×5, first 2 shown]
	v_mul_f16_e32 v73, v93, v62
	v_fma_f16 v62, v4, v62, -v64
	v_mul_f16_e32 v64, v92, v24
	v_mul_f16_e32 v75, v92, v65
	v_lshrrev_b32_e32 v69, 16, v30
	v_fmac_f16_e32 v73, v4, v23
	v_mul_f16_e32 v74, v91, v25
	v_fma_f16 v23, v5, v65, -v64
	v_mul_f16_e32 v64, v90, v67
	v_fmac_f16_e32 v75, v5, v24
	v_mul_f16_e32 v5, v90, v28
	v_mul_f16_e32 v24, v89, v68
	;; [unrolled: 1-line block ×3, first 2 shown]
	v_fmac_f16_e32 v64, v7, v28
	v_add_f16_e32 v28, v22, v73
	v_fma_f16 v5, v7, v67, -v5
	v_mul_f16_e32 v7, v89, v29
	v_fmac_f16_e32 v24, v0, v29
	v_add_f16_e32 v29, v35, v62
	v_fmac_f16_e32 v4, v6, v25
	v_fma_f16 v6, v6, v66, -v74
	v_mul_f16_e32 v25, v88, v69
	v_fma_f16 v0, v0, v68, -v7
	v_mul_f16_e32 v7, v88, v30
	v_add_f16_e32 v28, v28, v75
	v_add_f16_e32 v29, v29, v23
	v_fmac_f16_e32 v25, v1, v30
	v_lshrrev_b32_e32 v70, 16, v31
	v_fma_f16 v1, v1, v69, -v7
	v_add_f16_e32 v7, v28, v4
	v_add_f16_e32 v28, v29, v6
	v_lshrrev_b32_e32 v71, 16, v32
	v_lshrrev_b32_e32 v72, 16, v33
	v_mul_f16_e32 v30, v87, v70
	v_mul_f16_e32 v65, v87, v31
	v_add_f16_e32 v28, v28, v5
	v_mul_f16_e32 v29, v86, v71
	v_add_f16_e32 v7, v7, v64
	v_fmac_f16_e32 v30, v2, v31
	v_fma_f16 v2, v2, v70, -v65
	v_add_f16_e32 v28, v28, v0
	v_mul_f16_e32 v31, v86, v32
	v_mul_f16_e32 v65, v84, v72
	v_lshrrev_b32_e32 v63, 16, v34
	v_fmac_f16_e32 v29, v3, v32
	v_add_f16_e32 v28, v28, v1
	v_add_f16_e32 v7, v7, v24
	v_fma_f16 v3, v3, v71, -v31
	v_fmac_f16_e32 v65, v26, v33
	v_mul_f16_e32 v31, v85, v34
	v_mul_f16_e32 v33, v84, v33
	v_add_f16_e32 v28, v28, v2
	v_add_f16_e32 v7, v7, v25
	v_mul_f16_e32 v32, v85, v63
	v_fma_f16 v31, v27, v63, -v31
	v_fma_f16 v26, v26, v72, -v33
	v_add_f16_e32 v28, v28, v3
	v_add_f16_e32 v7, v7, v30
	v_fmac_f16_e32 v32, v27, v34
	v_sub_f16_e32 v27, v62, v31
	v_add_f16_e32 v34, v62, v31
	v_add_f16_e32 v28, v28, v26
	v_add_f16_e32 v7, v7, v29
	v_add_f16_e32 v33, v73, v32
	v_mul_f16_e32 v62, 0xb853, v27
	v_sub_f16_e32 v63, v73, v32
	v_mul_f16_e32 v66, 0x3abb, v34
	v_add_f16_e32 v28, v28, v31
	v_mul_f16_e32 v31, 0xbb47, v27
	v_mul_f16_e32 v69, 0x36a6, v34
	v_mul_f16_e32 v70, 0xbbeb, v27
	v_mul_f16_e32 v72, 0xb08e, v34
	v_mul_f16_e32 v84, 0xba0c, v27
	v_mul_f16_e32 v85, 0xb93d, v34
	v_mul_f16_e32 v27, 0xb482, v27
	v_mul_f16_e32 v34, 0xbbad, v34
	v_sub_f16_e32 v89, v23, v26
	v_add_f16_e32 v7, v7, v65
	v_fmamk_f16 v67, v33, 0x3abb, v62
	v_fma_f16 v62, v33, 0x3abb, -v62
	v_fmamk_f16 v68, v33, 0x36a6, v31
	v_fma_f16 v31, v33, 0x36a6, -v31
	;; [unrolled: 2-line block ×4, first 2 shown]
	v_fmamk_f16 v88, v33, 0xbbad, v27
	v_fmamk_f16 v90, v63, 0x3482, v34
	v_fma_f16 v27, v33, 0xbbad, -v27
	v_add_f16_e32 v23, v23, v26
	v_add_f16_e32 v26, v75, v65
	v_mul_f16_e32 v33, 0xbb47, v89
	v_add_f16_e32 v7, v7, v32
	v_fmamk_f16 v32, v63, 0x3853, v66
	v_add_f16_e32 v67, v22, v67
	v_fmac_f16_e32 v66, 0xb853, v63
	v_fmamk_f16 v71, v63, 0x3b47, v69
	v_fmac_f16_e32 v69, 0xbb47, v63
	v_fmamk_f16 v74, v63, 0x3beb, v72
	v_fmac_f16_e32 v72, 0xbbeb, v63
	v_fmamk_f16 v87, v63, 0x3a0c, v85
	v_fmac_f16_e32 v85, 0xba0c, v63
	v_fmac_f16_e32 v34, 0xb482, v63
	v_sub_f16_e32 v63, v75, v65
	v_mul_f16_e32 v65, 0x36a6, v23
	v_add_f16_e32 v75, v35, v90
	v_fmamk_f16 v90, v26, 0x36a6, v33
	v_add_f16_e32 v32, v35, v32
	v_add_f16_e32 v62, v22, v62
	;; [unrolled: 1-line block ×18, first 2 shown]
	v_fmamk_f16 v34, v63, 0x3b47, v65
	v_mul_f16_e32 v35, 0xba0c, v89
	v_add_f16_e32 v67, v90, v67
	v_fma_f16 v33, v26, 0x36a6, -v33
	v_fmac_f16_e32 v65, 0xbb47, v63
	v_mul_f16_e32 v90, 0xb93d, v23
	v_add_f16_e32 v32, v34, v32
	v_fmamk_f16 v34, v26, 0xb93d, v35
	v_add_f16_e32 v33, v33, v62
	v_add_f16_e32 v62, v65, v66
	v_mul_f16_e32 v65, 0x3482, v89
	v_fmamk_f16 v66, v63, 0x3a0c, v90
	v_fma_f16 v35, v26, 0xb93d, -v35
	v_fmac_f16_e32 v90, 0xba0c, v63
	v_mul_f16_e32 v91, 0xbbad, v23
	v_add_f16_e32 v34, v34, v68
	v_fmamk_f16 v68, v26, 0xbbad, v65
	v_add_f16_e32 v66, v66, v71
	v_add_f16_e32 v31, v35, v31
	;; [unrolled: 1-line block ×3, first 2 shown]
	v_fmamk_f16 v69, v63, 0xb482, v91
	v_mul_f16_e32 v71, 0x3beb, v89
	v_add_f16_e32 v68, v68, v73
	v_fma_f16 v65, v26, 0xbbad, -v65
	v_mul_f16_e32 v73, 0xb08e, v23
	v_add_f16_e32 v69, v69, v74
	v_fmamk_f16 v74, v26, 0xb08e, v71
	v_mul_f16_e32 v89, 0x3853, v89
	v_fma_f16 v71, v26, 0xb08e, -v71
	v_add_f16_e32 v65, v65, v70
	v_fmamk_f16 v70, v63, 0xbbeb, v73
	v_add_f16_e32 v74, v74, v86
	v_fmac_f16_e32 v73, 0x3beb, v63
	v_fmamk_f16 v86, v26, 0x3abb, v89
	v_add_f16_e32 v71, v71, v84
	v_sub_f16_e32 v84, v6, v3
	v_add_f16_e32 v70, v70, v87
	v_mul_f16_e32 v23, 0x3abb, v23
	v_add_f16_e32 v73, v73, v85
	v_add_f16_e32 v85, v86, v88
	;; [unrolled: 1-line block ×3, first 2 shown]
	v_mul_f16_e32 v88, 0xbbeb, v84
	v_add_f16_e32 v3, v6, v3
	v_fmamk_f16 v86, v63, 0xb853, v23
	v_fma_f16 v6, v26, 0x3abb, -v89
	v_fmac_f16_e32 v23, 0x3853, v63
	v_sub_f16_e32 v4, v4, v29
	v_fmamk_f16 v26, v87, 0xb08e, v88
	v_mul_f16_e32 v29, 0xb08e, v3
	v_fmac_f16_e32 v91, 0x3482, v63
	v_add_f16_e32 v63, v86, v75
	v_add_f16_e32 v6, v6, v22
	;; [unrolled: 1-line block ×4, first 2 shown]
	v_fmamk_f16 v26, v4, 0x3beb, v29
	v_mul_f16_e32 v27, 0x3482, v84
	v_fma_f16 v67, v87, 0xb08e, -v88
	v_fmac_f16_e32 v29, 0xbbeb, v4
	v_mul_f16_e32 v75, 0xbbad, v3
	v_add_f16_e32 v26, v26, v32
	v_fmamk_f16 v32, v87, 0xbbad, v27
	v_add_f16_e32 v33, v67, v33
	v_add_f16_e32 v29, v29, v62
	v_fmamk_f16 v62, v4, 0xb482, v75
	v_mul_f16_e32 v67, 0x3b47, v84
	v_add_f16_e32 v32, v32, v34
	v_fma_f16 v27, v87, 0xbbad, -v27
	v_fmac_f16_e32 v75, 0x3482, v4
	v_add_f16_e32 v34, v62, v66
	v_fmamk_f16 v62, v87, 0x36a6, v67
	v_mul_f16_e32 v66, 0x36a6, v3
	v_add_f16_e32 v27, v27, v31
	v_add_f16_e32 v31, v75, v35
	v_mul_f16_e32 v35, 0xb853, v84
	v_add_f16_e32 v62, v62, v68
	v_fmamk_f16 v68, v4, 0xbb47, v66
	v_mul_f16_e32 v86, 0x3abb, v3
	v_fma_f16 v67, v87, 0x36a6, -v67
	v_fmamk_f16 v75, v87, 0x3abb, v35
	v_mul_f16_e32 v3, 0xb93d, v3
	v_add_f16_e32 v68, v68, v69
	v_fmamk_f16 v69, v4, 0x3853, v86
	v_fma_f16 v35, v87, 0x3abb, -v35
	v_fmac_f16_e32 v86, 0xb853, v4
	v_add_f16_e32 v72, v91, v72
	v_fmac_f16_e32 v66, 0x3b47, v4
	v_add_f16_e32 v65, v67, v65
	v_add_f16_e32 v67, v75, v74
	v_fmamk_f16 v74, v4, 0x3a0c, v3
	v_add_f16_e32 v35, v35, v71
	v_add_f16_e32 v71, v86, v73
	v_sub_f16_e32 v73, v5, v2
	v_add_f16_e32 v66, v66, v72
	v_mul_f16_e32 v72, 0xba0c, v84
	v_add_f16_e32 v63, v74, v63
	v_add_f16_e32 v74, v64, v30
	;; [unrolled: 1-line block ×3, first 2 shown]
	v_mul_f16_e32 v5, 0xba0c, v73
	v_fmac_f16_e32 v3, 0xba0c, v4
	v_add_f16_e32 v69, v69, v70
	v_fmamk_f16 v70, v87, 0xb93d, v72
	v_fma_f16 v72, v87, 0xb93d, -v72
	v_sub_f16_e32 v4, v64, v30
	v_mul_f16_e32 v30, 0xb93d, v2
	v_fmamk_f16 v64, v74, 0xb93d, v5
	v_add_f16_e32 v3, v3, v22
	v_mul_f16_e32 v22, 0x3beb, v73
	v_add_f16_e32 v6, v72, v6
	v_fmamk_f16 v72, v4, 0x3a0c, v30
	v_add_f16_e32 v23, v64, v23
	v_fmac_f16_e32 v30, 0xba0c, v4
	v_fmamk_f16 v64, v74, 0xb08e, v22
	v_fma_f16 v5, v74, 0xb93d, -v5
	v_add_f16_e32 v26, v72, v26
	v_mul_f16_e32 v72, 0xb08e, v2
	v_add_f16_e32 v29, v30, v29
	v_add_f16_e32 v30, v64, v32
	v_mul_f16_e32 v32, 0xb853, v73
	v_add_f16_e32 v5, v5, v33
	v_fmamk_f16 v33, v4, 0xbbeb, v72
	v_fma_f16 v22, v74, 0xb08e, -v22
	v_mul_f16_e32 v64, 0x3abb, v2
	v_fmamk_f16 v75, v74, 0x3abb, v32
	v_fmac_f16_e32 v72, 0x3beb, v4
	v_add_f16_e32 v33, v33, v34
	v_add_f16_e32 v27, v22, v27
	v_fmamk_f16 v22, v4, 0x3853, v64
	v_add_f16_e32 v34, v75, v62
	v_mul_f16_e32 v62, 0xb482, v73
	v_fma_f16 v32, v74, 0x3abb, -v32
	v_add_f16_e32 v31, v72, v31
	v_fmac_f16_e32 v64, 0xb853, v4
	v_add_f16_e32 v68, v22, v68
	v_mul_f16_e32 v22, 0xbbad, v2
	v_fmamk_f16 v72, v74, 0xbbad, v62
	v_add_f16_e32 v32, v32, v65
	v_mul_f16_e32 v65, 0x3b47, v73
	v_add_f16_e32 v70, v70, v85
	v_add_f16_e32 v64, v64, v66
	v_fmamk_f16 v66, v4, 0x3482, v22
	v_add_f16_e32 v67, v72, v67
	v_fmamk_f16 v72, v74, 0x36a6, v65
	v_fma_f16 v62, v74, 0xbbad, -v62
	v_fmac_f16_e32 v22, 0xb482, v4
	v_add_f16_e32 v66, v66, v69
	v_mul_f16_e32 v2, 0x36a6, v2
	v_add_f16_e32 v69, v72, v70
	v_sub_f16_e32 v70, v0, v1
	v_add_f16_e32 v35, v62, v35
	v_add_f16_e32 v62, v22, v71
	v_fmamk_f16 v22, v4, 0xbb47, v2
	v_add_f16_e32 v0, v0, v1
	v_add_f16_e32 v1, v24, v25
	v_mul_f16_e32 v71, 0xb482, v70
	v_fma_f16 v65, v74, 0x36a6, -v65
	v_fmac_f16_e32 v2, 0x3b47, v4
	v_sub_f16_e32 v4, v24, v25
	v_mul_f16_e32 v24, 0xbbad, v0
	v_add_f16_e32 v63, v22, v63
	v_fmamk_f16 v22, v1, 0xbbad, v71
	v_add_f16_e32 v6, v65, v6
	v_add_f16_e32 v2, v2, v3
	v_fmamk_f16 v3, v4, 0x3482, v24
	v_mul_f16_e32 v25, 0x3853, v70
	v_add_f16_e32 v65, v22, v23
	v_fma_f16 v22, v1, 0xbbad, -v71
	v_fmac_f16_e32 v24, 0xb482, v4
	v_add_f16_e32 v3, v3, v26
	v_fmamk_f16 v26, v1, 0x3abb, v25
	v_mul_f16_e32 v71, 0x3abb, v0
	v_add_f16_e32 v22, v22, v5
	v_mul_f16_e32 v5, 0xba0c, v70
	v_add_f16_e32 v23, v24, v29
	v_add_f16_e32 v29, v26, v30
	v_fmamk_f16 v24, v4, 0xb853, v71
	v_fma_f16 v25, v1, 0x3abb, -v25
	v_fmamk_f16 v30, v1, 0xb93d, v5
	v_mul_f16_e32 v72, 0xb93d, v0
	v_fmac_f16_e32 v71, 0x3853, v4
	v_add_f16_e32 v33, v24, v33
	v_add_f16_e32 v24, v25, v27
	;; [unrolled: 1-line block ×3, first 2 shown]
	v_fmamk_f16 v25, v4, 0x3a0c, v72
	v_fma_f16 v5, v1, 0xb93d, -v5
	v_mul_f16_e32 v34, 0x36a6, v0
	v_add_f16_e32 v26, v71, v31
	v_mul_f16_e32 v31, 0x3b47, v70
	v_fmac_f16_e32 v72, 0xba0c, v4
	v_add_f16_e32 v68, v25, v68
	v_add_f16_e32 v25, v5, v32
	v_fmamk_f16 v5, v4, 0xbb47, v34
	v_mul_f16_e32 v0, 0xb08e, v0
	v_fmamk_f16 v71, v1, 0x36a6, v31
	v_add_f16_e32 v27, v72, v64
	v_fma_f16 v31, v1, 0x36a6, -v31
	v_mul_f16_e32 v64, 0xbbeb, v70
	v_add_f16_e32 v5, v5, v66
	v_fmamk_f16 v66, v4, 0x3beb, v0
	v_fmac_f16_e32 v0, 0xbbeb, v4
	v_add_f16_e32 v31, v31, v35
	v_fmac_f16_e32 v34, 0x3b47, v4
	v_fmamk_f16 v35, v1, 0xb08e, v64
	v_fma_f16 v1, v1, 0xb08e, -v64
	v_add_f16_e32 v0, v0, v2
	v_pack_b32_f16 v2, v7, v28
	v_pack_b32_f16 v3, v65, v3
	v_add_f16_e32 v32, v71, v67
	v_add_f16_e32 v4, v34, v62
	;; [unrolled: 1-line block ×5, first 2 shown]
	ds_store_2addr_b32 v76, v2, v3 offset1:33
	v_pack_b32_f16 v2, v29, v33
	v_pack_b32_f16 v3, v30, v68
	v_pack_b32_f16 v5, v32, v5
	v_pack_b32_f16 v6, v34, v35
	v_pack_b32_f16 v0, v1, v0
	v_pack_b32_f16 v1, v31, v4
	v_pack_b32_f16 v4, v25, v27
	v_pack_b32_f16 v7, v24, v26
	v_add_nc_u32_e32 v28, 0x400, v76
	v_pack_b32_f16 v29, v22, v23
	ds_store_2addr_b32 v76, v2, v3 offset0:66 offset1:99
	ds_store_2addr_b32 v76, v5, v6 offset0:132 offset1:165
	;; [unrolled: 1-line block ×4, first 2 shown]
	ds_store_b32 v76, v29 offset:1320
	v_add_nc_u32_e32 v2, 0xa00, v38
	global_wb scope:SCOPE_SE
	s_wait_dscnt 0x0
	s_barrier_signal -1
	s_barrier_wait -1
	global_inv scope:SCOPE_SE
	ds_load_2addr_b32 v[0:1], v38 offset1:132
	ds_load_2addr_b32 v[6:7], v20 offset0:107 offset1:239
	ds_load_2addr_b32 v[4:5], v2 offset0:86 offset1:218
	;; [unrolled: 1-line block ×3, first 2 shown]
	s_and_saveexec_b32 s1, s0
	s_cbranch_execz .LBB0_15
; %bb.14:
	ds_load_b32 v25, v38 offset:1056
	ds_load_b32 v24, v38 offset:2508
	ds_load_b32 v22, v38 offset:3960
	ds_load_b32 v18, v38 offset:5412
	s_wait_dscnt 0x3
	v_lshrrev_b32_e32 v27, 16, v25
	s_wait_dscnt 0x2
	v_lshrrev_b32_e32 v26, 16, v24
	;; [unrolled: 2-line block ×4, first 2 shown]
.LBB0_15:
	s_wait_alu 0xfffe
	s_or_b32 exec_lo, exec_lo, s1
	s_wait_dscnt 0x1
	v_lshrrev_b32_e32 v28, 16, v4
	v_lshrrev_b32_e32 v21, 16, v6
	s_wait_dscnt 0x0
	v_lshrrev_b32_e32 v29, 16, v2
	v_lshrrev_b32_e32 v31, 16, v7
	;; [unrolled: 1-line block ×3, first 2 shown]
	v_mul_f16_e32 v35, v82, v28
	v_mul_f16_e32 v33, v83, v21
	;; [unrolled: 1-line block ×4, first 2 shown]
	v_lshrrev_b32_e32 v62, 16, v3
	v_fmac_f16_e32 v35, v15, v4
	v_mul_f16_e32 v4, v81, v29
	v_fmac_f16_e32 v33, v14, v6
	v_fma_f16 v6, v14, v21, -v34
	v_fma_f16 v14, v15, v28, -v63
	v_mul_f16_e32 v15, v81, v2
	v_mul_f16_e32 v21, v80, v31
	;; [unrolled: 1-line block ×3, first 2 shown]
	v_fmac_f16_e32 v4, v16, v2
	v_mul_f16_e32 v2, v79, v32
	v_fma_f16 v15, v16, v29, -v15
	v_fmac_f16_e32 v21, v11, v7
	v_fma_f16 v7, v11, v31, -v28
	v_mul_f16_e32 v28, v78, v62
	v_fmac_f16_e32 v2, v12, v5
	v_mul_f16_e32 v5, v79, v5
	v_mul_f16_e32 v29, v78, v3
	v_lshrrev_b32_e32 v20, 16, v0
	v_lshrrev_b32_e32 v30, 16, v1
	v_fmac_f16_e32 v28, v13, v3
	v_fma_f16 v5, v12, v32, -v5
	v_fma_f16 v3, v13, v62, -v29
	v_sub_f16_e32 v11, v0, v35
	v_sub_f16_e32 v4, v33, v4
	;; [unrolled: 1-line block ×8, first 2 shown]
	v_fma_f16 v0, v0, 2.0, -v11
	v_fma_f16 v16, v33, 2.0, -v4
	;; [unrolled: 1-line block ×4, first 2 shown]
	v_add_f16_e32 v13, v11, v15
	v_fma_f16 v1, v1, 2.0, -v2
	v_fma_f16 v15, v30, 2.0, -v5
	;; [unrolled: 1-line block ×4, first 2 shown]
	v_sub_f16_e32 v4, v14, v4
	v_sub_f16_e32 v16, v0, v16
	;; [unrolled: 1-line block ×5, first 2 shown]
	v_add_f16_e32 v3, v2, v3
	v_sub_f16_e32 v12, v5, v12
	v_fma_f16 v11, v11, 2.0, -v13
	v_fma_f16 v14, v14, 2.0, -v4
	;; [unrolled: 1-line block ×8, first 2 shown]
	v_pack_b32_f16 v11, v11, v14
	v_pack_b32_f16 v6, v16, v6
	;; [unrolled: 1-line block ×8, first 2 shown]
	ds_store_b32 v38, v11 offset:1452
	ds_store_b32 v38, v6 offset:2904
	;; [unrolled: 1-line block ×3, first 2 shown]
	ds_store_2addr_b32 v38, v0, v1 offset1:132
	ds_store_b32 v38, v2 offset:1980
	ds_store_b32 v38, v5 offset:3432
	;; [unrolled: 1-line block ×3, first 2 shown]
	s_and_saveexec_b32 s1, s0
	s_cbranch_execz .LBB0_17
; %bb.16:
	v_mul_f16_e32 v0, v77, v23
	v_mul_f16_e32 v1, v37, v24
	;; [unrolled: 1-line block ×6, first 2 shown]
	v_fmac_f16_e32 v0, v9, v22
	v_fma_f16 v1, v8, v26, -v1
	v_fmac_f16_e32 v3, v8, v24
	v_fmac_f16_e32 v4, v10, v18
	v_fma_f16 v2, v9, v23, -v2
	v_fma_f16 v5, v10, v19, -v5
	v_sub_f16_e32 v0, v25, v0
	s_delay_alu instid0(VALU_DEP_4) | instskip(NEXT) | instid1(VALU_DEP_4)
	v_sub_f16_e32 v4, v3, v4
	v_sub_f16_e32 v2, v27, v2
	s_delay_alu instid0(VALU_DEP_4) | instskip(NEXT) | instid1(VALU_DEP_4)
	v_sub_f16_e32 v5, v1, v5
	v_fma_f16 v6, v25, 2.0, -v0
	s_delay_alu instid0(VALU_DEP_4) | instskip(NEXT) | instid1(VALU_DEP_4)
	v_fma_f16 v3, v3, 2.0, -v4
	v_fma_f16 v7, v27, 2.0, -v2
	s_delay_alu instid0(VALU_DEP_4) | instskip(SKIP_3) | instid1(VALU_DEP_4)
	v_fma_f16 v1, v1, 2.0, -v5
	v_add_f16_e32 v5, v0, v5
	v_sub_f16_e32 v4, v2, v4
	v_sub_f16_e32 v3, v6, v3
	;; [unrolled: 1-line block ×3, first 2 shown]
	s_delay_alu instid0(VALU_DEP_4) | instskip(NEXT) | instid1(VALU_DEP_4)
	v_fma_f16 v0, v0, 2.0, -v5
	v_fma_f16 v2, v2, 2.0, -v4
	s_delay_alu instid0(VALU_DEP_4) | instskip(NEXT) | instid1(VALU_DEP_4)
	v_fma_f16 v6, v6, 2.0, -v3
	v_fma_f16 v7, v7, 2.0, -v1
	v_pack_b32_f16 v1, v3, v1
	s_delay_alu instid0(VALU_DEP_4) | instskip(SKIP_1) | instid1(VALU_DEP_4)
	v_pack_b32_f16 v0, v0, v2
	v_pack_b32_f16 v2, v5, v4
	v_pack_b32_f16 v6, v6, v7
	ds_store_b32 v38, v6 offset:1056
	ds_store_b32 v38, v0 offset:2508
	;; [unrolled: 1-line block ×4, first 2 shown]
.LBB0_17:
	s_wait_alu 0xfffe
	s_or_b32 exec_lo, exec_lo, s1
	global_wb scope:SCOPE_SE
	s_wait_dscnt 0x0
	s_barrier_signal -1
	s_barrier_wait -1
	global_inv scope:SCOPE_SE
	ds_load_2addr_b32 v[0:1], v38 offset1:132
	v_mad_co_u64_u32 v[14:15], null, s4, v55, 0
	v_add_nc_u32_e32 v2, 0x400, v38
	s_mov_b32 s8, 0x3a88d0c0
	s_mov_b32 s9, 0x3f469147
	ds_load_2addr_b32 v[2:3], v2 offset0:8 offset1:140
	s_wait_dscnt 0x1
	v_lshrrev_b32_e32 v4, 16, v0
	v_mul_f16_e32 v5, v61, v0
	v_lshrrev_b32_e32 v6, 16, v1
	v_mul_f16_e32 v7, v60, v1
	s_delay_alu instid0(VALU_DEP_4) | instskip(NEXT) | instid1(VALU_DEP_4)
	v_mul_f16_e32 v8, v61, v4
	v_fma_f16 v5, v58, v4, -v5
	s_delay_alu instid0(VALU_DEP_4) | instskip(NEXT) | instid1(VALU_DEP_4)
	v_mul_f16_e32 v9, v60, v6
	v_fma_f16 v4, v57, v6, -v7
	s_wait_dscnt 0x0
	v_lshrrev_b32_e32 v10, 16, v2
	v_fmac_f16_e32 v8, v58, v0
	v_cvt_f32_f16_e32 v5, v5
	v_fmac_f16_e32 v9, v57, v1
	v_cvt_f32_f16_e32 v0, v4
	v_mul_f16_e32 v11, v59, v10
	v_cvt_f32_f16_e32 v8, v8
	v_cvt_f64_f32_e32 v[4:5], v5
	s_delay_alu instid0(VALU_DEP_4) | instskip(NEXT) | instid1(VALU_DEP_4)
	v_cvt_f64_f32_e32 v[6:7], v0
	v_fmac_f16_e32 v11, v56, v2
	s_delay_alu instid0(VALU_DEP_4) | instskip(SKIP_2) | instid1(VALU_DEP_4)
	v_cvt_f64_f32_e32 v[0:1], v8
	v_cvt_f32_f16_e32 v8, v9
	v_mul_f16_e32 v2, v59, v2
	v_cvt_f32_f16_e32 v12, v11
	s_delay_alu instid0(VALU_DEP_3) | instskip(NEXT) | instid1(VALU_DEP_3)
	v_cvt_f64_f32_e32 v[8:9], v8
	v_fma_f16 v2, v56, v10, -v2
	v_mad_co_u64_u32 v[10:11], null, s6, v17, 0
	s_delay_alu instid0(VALU_DEP_4) | instskip(NEXT) | instid1(VALU_DEP_3)
	v_cvt_f64_f32_e32 v[12:13], v12
	v_cvt_f32_f16_e32 v2, v2
	s_delay_alu instid0(VALU_DEP_1) | instskip(NEXT) | instid1(VALU_DEP_4)
	v_cvt_f64_f32_e32 v[18:19], v2
	v_dual_mov_b32 v2, v11 :: v_dual_mov_b32 v11, v15
	s_delay_alu instid0(VALU_DEP_1)
	v_mad_co_u64_u32 v[15:16], null, s7, v17, v[2:3]
	v_lshrrev_b32_e32 v2, 16, v3
	s_wait_alu 0xfffe
	v_mul_f64_e32 v[4:5], s[8:9], v[4:5]
	v_mul_f64_e32 v[6:7], s[8:9], v[6:7]
	;; [unrolled: 1-line block ×4, first 2 shown]
	v_mad_co_u64_u32 v[16:17], null, s5, v55, v[11:12]
	v_mov_b32_e32 v11, v15
	s_delay_alu instid0(VALU_DEP_1) | instskip(NEXT) | instid1(VALU_DEP_1)
	v_lshlrev_b64_e32 v[10:11], 2, v[10:11]
	v_add_co_u32 v17, vcc_lo, s2, v10
	s_wait_alu 0xfffd
	s_delay_alu instid0(VALU_DEP_2)
	v_add_co_ci_u32_e32 v20, vcc_lo, s3, v11, vcc_lo
	v_mul_f64_e32 v[10:11], s[8:9], v[12:13]
	v_and_or_b32 v4, 0x1ff, v5, v4
	v_and_or_b32 v6, 0x1ff, v7, v6
	v_bfe_u32 v21, v7, 20, 11
	v_and_or_b32 v0, 0x1ff, v1, v0
	v_bfe_u32 v23, v1, 20, 11
	v_lshrrev_b32_e32 v22, 8, v1
	v_lshrrev_b32_e32 v1, 16, v1
	v_sub_nc_u32_e32 v27, 0x3f1, v21
	v_bfe_u32 v26, v9, 20, 11
	v_mov_b32_e32 v15, v16
	v_mul_f16_e32 v16, v54, v2
	v_and_or_b32 v8, 0x1ff, v9, v8
	v_sub_nc_u32_e32 v28, 0x3f1, v23
	v_lshrrev_b32_e32 v25, 8, v9
	v_lshlrev_b64_e32 v[14:15], 2, v[14:15]
	v_fmac_f16_e32 v16, v53, v3
	v_add_nc_u32_e32 v23, 0xfffffc10, v23
	v_mul_f16_e32 v3, v54, v3
	s_delay_alu instid0(VALU_DEP_4)
	v_add_co_u32 v12, vcc_lo, v17, v14
	s_wait_alu 0xfffd
	v_add_co_ci_u32_e32 v13, vcc_lo, v20, v15, vcc_lo
	v_cmp_ne_u32_e32 vcc_lo, 0, v4
	v_cvt_f32_f16_e32 v16, v16
	v_lshrrev_b32_e32 v20, 8, v7
	v_lshrrev_b32_e32 v7, 16, v7
	s_wait_alu 0xfffd
	v_cndmask_b32_e64 v4, 0, 1, vcc_lo
	v_cmp_ne_u32_e32 vcc_lo, 0, v6
	v_cvt_f64_f32_e32 v[14:15], v16
	v_mul_f64_e32 v[16:17], s[8:9], v[18:19]
	v_lshrrev_b32_e32 v18, 8, v5
	v_bfe_u32 v19, v5, 20, 11
	s_wait_alu 0xfffd
	v_cndmask_b32_e64 v6, 0, 1, vcc_lo
	v_cmp_ne_u32_e32 vcc_lo, 0, v0
	v_and_or_b32 v10, 0x1ff, v11, v10
	v_and_or_b32 v4, 0xffe, v18, v4
	v_sub_nc_u32_e32 v24, 0x3f1, v19
	v_add_nc_u32_e32 v19, 0xfffffc10, v19
	s_wait_alu 0xfffd
	v_cndmask_b32_e64 v0, 0, 1, vcc_lo
	v_cmp_ne_u32_e32 vcc_lo, 0, v8
	v_and_or_b32 v6, 0xffe, v20, v6
	v_med3_i32 v18, v24, 0, 13
	v_lshl_or_b32 v30, v19, 12, v4
	v_and_or_b32 v0, 0xffe, v22, v0
	s_wait_alu 0xfffd
	v_cndmask_b32_e64 v8, 0, 1, vcc_lo
	v_cmp_ne_u32_e32 vcc_lo, 0, v4
	v_med3_i32 v22, v28, 0, 13
	v_or_b32_e32 v28, 0x1000, v4
	v_med3_i32 v20, v27, 0, 13
	v_lshrrev_b32_e32 v27, 8, v11
	s_wait_alu 0xfffd
	v_cndmask_b32_e64 v4, 0, 1, vcc_lo
	v_cmp_ne_u32_e32 vcc_lo, 0, v10
	v_and_or_b32 v8, 0xffe, v25, v8
	v_or_b32_e32 v32, 0x1000, v0
	v_lshrrev_b32_e32 v34, v18, v28
	v_sub_nc_u32_e32 v24, 0x3f1, v26
	s_wait_alu 0xfffd
	v_cndmask_b32_e64 v10, 0, 1, vcc_lo
	v_cmp_ne_u32_e32 vcc_lo, 0, v0
	v_add_nc_u32_e32 v26, 0xfffffc10, v26
	v_or_b32_e32 v25, 0x1000, v6
	v_lshl_or_b32 v33, v23, 12, v0
	v_and_or_b32 v10, 0xffe, v27, v10
	s_wait_alu 0xfffd
	v_cndmask_b32_e64 v0, 0, 1, vcc_lo
	v_cmp_ne_u32_e32 vcc_lo, 0, v8
	v_lshrrev_b32_e32 v27, v22, v32
	v_lshlrev_b32_e32 v18, v18, v34
	v_med3_i32 v24, v24, 0, 13
	v_or_b32_e32 v35, 0x1000, v8
	v_lshl_or_b32 v36, v26, 12, v8
	s_wait_alu 0xfffd
	v_cndmask_b32_e64 v8, 0, 1, vcc_lo
	v_lshrrev_b32_e32 v37, v20, v25
	v_lshlrev_b32_e32 v22, v22, v27
	v_cmp_ne_u32_e32 vcc_lo, v18, v28
	v_lshrrev_b32_e32 v55, v24, v35
	v_lshl_or_b32 v0, v0, 9, 0x7c00
	v_lshlrev_b32_e32 v20, v20, v37
	v_lshl_or_b32 v4, v4, 9, 0x7c00
	s_wait_alu 0xfffd
	v_cndmask_b32_e64 v18, 0, 1, vcc_lo
	v_cmp_ne_u32_e32 vcc_lo, v22, v32
	v_lshlrev_b32_e32 v24, v24, v55
	v_lshrrev_b32_e32 v5, 16, v5
	v_bfe_u32 v29, v11, 20, 11
	v_or_b32_e32 v18, v34, v18
	s_wait_alu 0xfffd
	v_cndmask_b32_e64 v22, 0, 1, vcc_lo
	v_cmp_ne_u32_e32 vcc_lo, v20, v25
	v_lshl_or_b32 v8, v8, 9, 0x7c00
	v_lshrrev_b32_e32 v11, 16, v11
	s_delay_alu instid0(VALU_DEP_4) | instskip(SKIP_3) | instid1(VALU_DEP_2)
	v_or_b32_e32 v22, v27, v22
	s_wait_alu 0xfffd
	v_cndmask_b32_e64 v20, 0, 1, vcc_lo
	v_cmp_ne_u32_e32 vcc_lo, v24, v35
	v_or_b32_e32 v20, v37, v20
	s_wait_alu 0xfffd
	v_cndmask_b32_e64 v24, 0, 1, vcc_lo
	v_cmp_gt_i32_e32 vcc_lo, 1, v19
	s_delay_alu instid0(VALU_DEP_2)
	v_or_b32_e32 v24, v55, v24
	s_wait_alu 0xfffd
	v_cndmask_b32_e32 v18, v30, v18, vcc_lo
	v_cmp_gt_i32_e32 vcc_lo, 1, v23
	s_wait_alu 0xfffd
	v_dual_cndmask_b32 v22, v33, v22 :: v_dual_add_nc_u32 v21, 0xfffffc10, v21
	s_delay_alu instid0(VALU_DEP_1) | instskip(SKIP_1) | instid1(VALU_DEP_3)
	v_lshl_or_b32 v31, v21, 12, v6
	v_cmp_gt_i32_e32 vcc_lo, 1, v21
	v_and_b32_e32 v27, 7, v22
	v_lshrrev_b32_e32 v22, 2, v22
	s_wait_alu 0xfffd
	v_cndmask_b32_e32 v20, v31, v20, vcc_lo
	v_cmp_gt_i32_e32 vcc_lo, 1, v26
	v_and_b32_e32 v25, 7, v18
	v_cmp_eq_u32_e64 s0, 3, v27
	v_lshrrev_b32_e32 v18, 2, v18
	v_and_b32_e32 v28, 7, v20
	s_wait_alu 0xfffd
	v_cndmask_b32_e32 v24, v36, v24, vcc_lo
	v_cmp_lt_i32_e32 vcc_lo, 5, v27
	v_cmp_lt_i32_e64 s1, 5, v25
	v_cmp_eq_u32_e64 s2, 3, v25
	s_or_b32 vcc_lo, s0, vcc_lo
	v_cmp_gt_i32_e64 s0, 31, v19
	s_wait_alu 0xfffe
	v_add_co_ci_u32_e32 v22, vcc_lo, 0, v22, vcc_lo
	s_or_b32 vcc_lo, s2, s1
	v_cmp_eq_u32_e64 s1, 0x40f, v19
	s_wait_alu 0xfffe
	v_add_co_ci_u32_e32 v18, vcc_lo, 0, v18, vcc_lo
	v_cmp_gt_i32_e32 vcc_lo, 31, v23
	v_and_b32_e32 v25, 7, v24
	v_lshrrev_b32_e32 v19, 8, v17
	s_delay_alu instid0(VALU_DEP_4)
	v_cndmask_b32_e64 v18, 0x7c00, v18, s0
	v_cmp_eq_u32_e64 s0, 0x40f, v23
	s_wait_alu 0xfffd
	v_cndmask_b32_e32 v22, 0x7c00, v22, vcc_lo
	v_cmp_lt_i32_e32 vcc_lo, 5, v25
	s_mul_u64 s[2:3], s[4:5], 0x210
	v_cndmask_b32_e64 v4, v18, v4, s1
	v_cmp_eq_u32_e64 s1, 0x40f, v26
	v_cndmask_b32_e64 v0, v22, v0, s0
	v_cmp_eq_u32_e64 s0, 3, v25
	v_lshrrev_b32_e32 v22, 2, v24
	v_and_or_b32 v4, 0x8000, v5, v4
	v_or_b32_e32 v5, 0x1000, v10
	v_and_or_b32 v0, 0x8000, v1, v0
	s_or_b32 vcc_lo, s0, vcc_lo
	v_cmp_gt_i32_e64 s0, 31, v26
	s_wait_alu 0xfffe
	v_add_co_ci_u32_e32 v1, vcc_lo, 0, v22, vcc_lo
	v_and_b32_e32 v0, 0xffff, v0
	v_cmp_lt_i32_e32 vcc_lo, 5, v28
	s_wait_alu 0xf1ff
	s_delay_alu instid0(VALU_DEP_3)
	v_cndmask_b32_e64 v1, 0x7c00, v1, s0
	v_cmp_eq_u32_e64 s0, 3, v28
	v_lshl_or_b32 v18, v4, 16, v0
	v_lshrrev_b32_e32 v4, 2, v20
	v_sub_nc_u32_e32 v0, 0x3f1, v29
	v_cndmask_b32_e64 v1, v1, v8, s1
	s_or_b32 vcc_lo, s0, vcc_lo
	v_lshrrev_b32_e32 v8, 16, v9
	s_wait_alu 0xfffe
	v_add_co_ci_u32_e32 v4, vcc_lo, 0, v4, vcc_lo
	v_med3_i32 v0, v0, 0, 13
	v_cmp_ne_u32_e32 vcc_lo, 0, v6
	v_and_or_b32 v8, 0x8000, v8, v1
	v_fma_f16 v1, v53, v2, -v3
	v_and_or_b32 v2, 0x1ff, v17, v16
	v_lshrrev_b32_e32 v9, v0, v5
	s_wait_alu 0xfffd
	v_cndmask_b32_e64 v6, 0, 1, vcc_lo
	v_cmp_gt_i32_e32 vcc_lo, 31, v21
	v_add_nc_u32_e32 v16, 0xfffffc10, v29
	v_bfe_u32 v20, v17, 20, 11
	v_lshlrev_b32_e32 v0, v0, v9
	v_lshl_or_b32 v6, v6, 9, 0x7c00
	s_wait_alu 0xfffd
	v_cndmask_b32_e32 v4, 0x7c00, v4, vcc_lo
	v_cmp_eq_u32_e32 vcc_lo, 0x40f, v21
	v_and_b32_e32 v8, 0xffff, v8
	global_store_b32 v[12:13], v18, off
	v_lshrrev_b32_e32 v17, 16, v17
	s_wait_alu 0xfffd
	v_cndmask_b32_e32 v6, v4, v6, vcc_lo
	v_cmp_ne_u32_e32 vcc_lo, v0, v5
	v_cvt_f32_f16_e32 v0, v1
	s_wait_alu 0xfffd
	v_cndmask_b32_e64 v4, 0, 1, vcc_lo
	v_cmp_ne_u32_e32 vcc_lo, 0, v2
	s_delay_alu instid0(VALU_DEP_3)
	v_cvt_f64_f32_e32 v[0:1], v0
	v_mul_f64_e32 v[2:3], s[8:9], v[14:15]
	v_add_nc_u32_e32 v15, 0x800, v38
	v_or_b32_e32 v4, v9, v4
	s_wait_alu 0xfffd
	v_cndmask_b32_e64 v5, 0, 1, vcc_lo
	v_lshl_or_b32 v9, v16, 12, v10
	v_cmp_gt_i32_e32 vcc_lo, 1, v16
	s_delay_alu instid0(VALU_DEP_3) | instskip(SKIP_3) | instid1(VALU_DEP_3)
	v_and_or_b32 v14, 0xffe, v19, v5
	v_sub_nc_u32_e32 v5, 0x3f1, v20
	s_wait_alu 0xfffd
	v_cndmask_b32_e32 v9, v9, v4, vcc_lo
	v_or_b32_e32 v19, 0x1000, v14
	s_delay_alu instid0(VALU_DEP_3) | instskip(SKIP_4) | instid1(VALU_DEP_3)
	v_med3_i32 v21, v5, 0, 13
	ds_load_2addr_b32 v[4:5], v15 offset0:16 offset1:148
	v_and_b32_e32 v15, 7, v9
	v_and_or_b32 v6, 0x8000, v7, v6
	v_lshrrev_b32_e32 v7, v21, v19
	v_cmp_lt_i32_e32 vcc_lo, 5, v15
	v_cmp_eq_u32_e64 s0, 3, v15
	s_delay_alu instid0(VALU_DEP_3) | instskip(SKIP_2) | instid1(VALU_DEP_4)
	v_lshlrev_b32_e32 v18, v21, v7
	v_lshl_or_b32 v21, v6, 16, v8
	v_lshrrev_b32_e32 v6, 2, v9
	s_or_b32 vcc_lo, s0, vcc_lo
	v_add_nc_u32_e32 v9, 0xfffffc10, v20
	v_cmp_ne_u32_e64 s1, v18, v19
	s_wait_alu 0xfffe
	v_add_co_ci_u32_e32 v6, vcc_lo, 0, v6, vcc_lo
	v_cmp_ne_u32_e32 vcc_lo, 0, v10
	s_wait_alu 0xf1ff
	v_cndmask_b32_e64 v8, 0, 1, s1
	v_cmp_eq_u32_e64 s1, 0x40f, v16
	s_wait_dscnt 0x0
	v_lshrrev_b32_e32 v15, 16, v4
	v_mul_f64_e32 v[0:1], s[8:9], v[0:1]
	s_wait_alu 0xfffd
	v_cndmask_b32_e64 v10, 0, 1, vcc_lo
	v_or_b32_e32 v7, v7, v8
	v_lshl_or_b32 v8, v9, 12, v14
	v_cmp_gt_i32_e32 vcc_lo, 1, v9
	v_and_or_b32 v2, 0x1ff, v3, v2
	v_lshrrev_b32_e32 v19, 8, v3
	v_bfe_u32 v20, v3, 20, 11
	v_lshl_or_b32 v10, v10, 9, 0x7c00
	s_wait_alu 0xfffd
	v_cndmask_b32_e32 v8, v8, v7, vcc_lo
	v_cmp_gt_i32_e32 vcc_lo, 31, v16
	v_mul_f16_e32 v7, v52, v15
	v_lshrrev_b32_e32 v3, 16, v3
	s_wait_alu 0xfffd
	v_cndmask_b32_e32 v18, 0x7c00, v6, vcc_lo
	v_cmp_ne_u32_e32 vcc_lo, 0, v2
	v_and_b32_e32 v6, 7, v8
	v_lshrrev_b32_e32 v8, 2, v8
	v_fmac_f16_e32 v7, v51, v4
	s_wait_alu 0xf1ff
	v_cndmask_b32_e64 v10, v18, v10, s1
	s_wait_alu 0xfffd
	v_cndmask_b32_e64 v2, 0, 1, vcc_lo
	v_cmp_lt_i32_e32 vcc_lo, 5, v6
	v_cmp_eq_u32_e64 s0, 3, v6
	v_mul_f16_e32 v4, v52, v4
	v_and_or_b32 v10, 0x8000, v11, v10
	v_and_or_b32 v2, 0xffe, v19, v2
	v_sub_nc_u32_e32 v19, 0x3f1, v20
	s_or_b32 vcc_lo, s0, vcc_lo
	v_fma_f16 v4, v51, v15, -v4
	s_wait_alu 0xfffe
	v_add_co_ci_u32_e32 v8, vcc_lo, 0, v8, vcc_lo
	v_or_b32_e32 v16, 0x1000, v2
	v_med3_i32 v18, v19, 0, 13
	v_cmp_ne_u32_e32 vcc_lo, 0, v14
	v_cvt_f32_f16_e32 v7, v7
	v_cvt_f32_f16_e32 v4, v4
	s_delay_alu instid0(VALU_DEP_4)
	v_lshrrev_b32_e32 v19, v18, v16
	s_wait_alu 0xfffd
	v_cndmask_b32_e64 v14, 0, 1, vcc_lo
	v_cmp_gt_i32_e32 vcc_lo, 31, v9
	v_and_or_b32 v0, 0x1ff, v1, v0
	v_cvt_f64_f32_e32 v[6:7], v7
	v_lshlrev_b32_e32 v11, v18, v19
	v_lshl_or_b32 v14, v14, 9, 0x7c00
	s_wait_alu 0xfffd
	v_cndmask_b32_e32 v8, 0x7c00, v8, vcc_lo
	v_cmp_eq_u32_e32 vcc_lo, 0x40f, v9
	v_lshrrev_b32_e32 v9, 8, v1
	v_bfe_u32 v15, v1, 20, 11
	s_wait_alu 0xfffd
	v_cndmask_b32_e32 v14, v8, v14, vcc_lo
	v_cmp_ne_u32_e32 vcc_lo, v11, v16
	v_add_nc_u32_e32 v16, 0xfffffc10, v20
	v_sub_nc_u32_e32 v18, 0x3f1, v15
	s_delay_alu instid0(VALU_DEP_4) | instskip(SKIP_4) | instid1(VALU_DEP_3)
	v_and_or_b32 v14, 0x8000, v17, v14
	s_wait_alu 0xfffd
	v_cndmask_b32_e64 v8, 0, 1, vcc_lo
	v_cmp_ne_u32_e32 vcc_lo, 0, v0
	v_med3_i32 v18, v18, 0, 13
	v_or_b32_e32 v11, v19, v8
	s_wait_alu 0xfffd
	v_cndmask_b32_e64 v0, 0, 1, vcc_lo
	v_cmp_gt_i32_e32 vcc_lo, 1, v16
	s_delay_alu instid0(VALU_DEP_2) | instskip(SKIP_3) | instid1(VALU_DEP_4)
	v_and_or_b32 v0, 0xffe, v9, v0
	v_cvt_f64_f32_e32 v[8:9], v4
	v_lshl_or_b32 v4, v16, 12, v2
	v_and_b32_e32 v17, 0xffff, v10
	v_or_b32_e32 v19, 0x1000, v0
	s_wait_alu 0xfffd
	s_delay_alu instid0(VALU_DEP_3) | instskip(SKIP_1) | instid1(VALU_DEP_3)
	v_cndmask_b32_e32 v4, v4, v11, vcc_lo
	v_add_co_u32 v10, vcc_lo, v12, s2
	v_lshrrev_b32_e32 v20, v18, v19
	s_wait_alu 0xfffd
	v_add_co_ci_u32_e32 v11, vcc_lo, s3, v13, vcc_lo
	v_mul_f64_e32 v[6:7], s[8:9], v[6:7]
	v_lshl_or_b32 v17, v14, 16, v17
	v_and_b32_e32 v14, 7, v4
	v_lshlrev_b32_e32 v18, v18, v20
	v_add_co_u32 v12, vcc_lo, v10, s2
	s_wait_alu 0xfffd
	v_add_co_ci_u32_e32 v13, vcc_lo, s3, v11, vcc_lo
	v_cmp_lt_i32_e32 vcc_lo, 5, v14
	v_cmp_eq_u32_e64 s0, 3, v14
	v_cmp_ne_u32_e64 s1, v18, v19
	v_lshrrev_b32_e32 v4, 2, v4
	v_lshrrev_b32_e32 v19, 16, v5
	v_add_nc_u32_e32 v18, 0xfffffc10, v15
	s_or_b32 vcc_lo, s0, vcc_lo
	v_cndmask_b32_e64 v14, 0, 1, s1
	s_wait_alu 0xfffe
	v_add_co_ci_u32_e32 v4, vcc_lo, 0, v4, vcc_lo
	v_cmp_ne_u32_e32 vcc_lo, 0, v2
	v_lshl_or_b32 v15, v18, 12, v0
	v_or_b32_e32 v14, v20, v14
	v_mul_f16_e32 v20, v50, v19
	s_wait_alu 0xfffd
	v_cndmask_b32_e64 v2, 0, 1, vcc_lo
	v_cmp_gt_i32_e32 vcc_lo, 1, v18
	v_mul_f64_e32 v[8:9], s[8:9], v[8:9]
	v_fmac_f16_e32 v20, v49, v5
	s_delay_alu instid0(VALU_DEP_4) | instskip(SKIP_1) | instid1(VALU_DEP_1)
	v_lshl_or_b32 v2, v2, 9, 0x7c00
	v_mul_f16_e32 v5, v50, v5
	v_fma_f16 v5, v49, v19, -v5
	v_and_or_b32 v6, 0x1ff, v7, v6
	v_bfe_u32 v24, v7, 20, 11
	s_delay_alu instid0(VALU_DEP_3)
	v_cvt_f32_f16_e32 v5, v5
	v_bfe_u32 v25, v9, 20, 11
	s_wait_alu 0xfffd
	v_cndmask_b32_e32 v22, v15, v14, vcc_lo
	v_cmp_gt_i32_e32 vcc_lo, 31, v16
	v_cvt_f32_f16_e32 v14, v20
	v_lshrrev_b32_e32 v20, 8, v7
	s_wait_alu 0xfffd
	v_dual_cndmask_b32 v4, 0x7c00, v4 :: v_dual_and_b32 v23, 7, v22
	v_cmp_ne_u32_e32 vcc_lo, 0, v6
	v_cvt_f64_f32_e32 v[14:15], v14
	s_delay_alu instid0(VALU_DEP_3) | instskip(SKIP_4) | instid1(VALU_DEP_3)
	v_cmp_eq_u32_e64 s0, 3, v23
	s_wait_alu 0xfffd
	v_cndmask_b32_e64 v6, 0, 1, vcc_lo
	v_cmp_eq_u32_e32 vcc_lo, 0x40f, v16
	v_lshrrev_b32_e32 v16, 2, v22
	v_and_or_b32 v6, 0xffe, v20, v6
	s_wait_alu 0xfffd
	v_cndmask_b32_e32 v2, v4, v2, vcc_lo
	v_cmp_lt_i32_e32 vcc_lo, 5, v23
	v_sub_nc_u32_e32 v4, 0x3f1, v24
	v_or_b32_e32 v20, 0x1000, v6
	s_delay_alu instid0(VALU_DEP_4) | instskip(SKIP_1) | instid1(VALU_DEP_3)
	v_and_or_b32 v22, 0x8000, v3, v2
	s_or_b32 vcc_lo, s0, vcc_lo
	v_med3_i32 v4, v4, 0, 13
	s_wait_alu 0xfffe
	v_add_co_ci_u32_e32 v16, vcc_lo, 0, v16, vcc_lo
	v_cmp_ne_u32_e32 vcc_lo, 0, v0
	v_cvt_f64_f32_e32 v[2:3], v5
	v_lshrrev_b32_e32 v19, v4, v20
	s_wait_alu 0xfffd
	v_cndmask_b32_e64 v0, 0, 1, vcc_lo
	v_cmp_gt_i32_e32 vcc_lo, 31, v18
	s_delay_alu instid0(VALU_DEP_3) | instskip(NEXT) | instid1(VALU_DEP_3)
	v_lshlrev_b32_e32 v4, v4, v19
	v_lshl_or_b32 v0, v0, 9, 0x7c00
	s_wait_alu 0xfffd
	v_cndmask_b32_e32 v16, 0x7c00, v16, vcc_lo
	v_cmp_eq_u32_e32 vcc_lo, 0x40f, v18
	v_lshrrev_b32_e32 v18, 16, v1
	s_wait_alu 0xfffd
	s_delay_alu instid0(VALU_DEP_3)
	v_cndmask_b32_e32 v16, v16, v0, vcc_lo
	v_and_or_b32 v0, 0x1ff, v9, v8
	v_cmp_ne_u32_e32 vcc_lo, v4, v20
	v_add_nc_u32_e32 v4, 0xc00, v38
	v_add_nc_u32_e32 v20, 0xfffffc10, v24
	v_lshrrev_b32_e32 v24, 8, v9
	v_lshrrev_b32_e32 v9, 16, v9
	s_wait_alu 0xfffd
	v_cndmask_b32_e64 v8, 0, 1, vcc_lo
	v_cmp_ne_u32_e32 vcc_lo, 0, v0
	v_mul_f64_e32 v[0:1], s[8:9], v[14:15]
	ds_load_2addr_b32 v[4:5], v4 offset0:24 offset1:156
	v_lshl_or_b32 v15, v20, 12, v6
	v_or_b32_e32 v8, v19, v8
	v_and_b32_e32 v19, 0xffff, v22
	s_wait_alu 0xfffd
	v_cndmask_b32_e64 v23, 0, 1, vcc_lo
	v_and_or_b32 v14, 0x8000, v18, v16
	v_sub_nc_u32_e32 v18, 0x3f1, v25
	v_cmp_gt_i32_e32 vcc_lo, 1, v20
	s_clause 0x1
	global_store_b32 v[10:11], v21, off
	global_store_b32 v[12:13], v17, off
	v_and_or_b32 v16, 0xffe, v24, v23
	v_lshl_or_b32 v14, v14, 16, v19
	v_med3_i32 v18, v18, 0, 13
	s_wait_alu 0xfffd
	v_cndmask_b32_e32 v8, v15, v8, vcc_lo
	v_add_co_u32 v10, vcc_lo, v12, s2
	v_or_b32_e32 v15, 0x1000, v16
	s_wait_alu 0xfffd
	v_add_co_ci_u32_e32 v11, vcc_lo, s3, v13, vcc_lo
	v_and_b32_e32 v17, 7, v8
	v_mul_f64_e32 v[2:3], s[8:9], v[2:3]
	v_lshrrev_b32_e32 v19, v18, v15
	s_wait_dscnt 0x0
	v_lshrrev_b32_e32 v21, 16, v4
	v_lshrrev_b32_e32 v8, 2, v8
	v_cmp_lt_i32_e32 vcc_lo, 5, v17
	v_cmp_eq_u32_e64 s0, 3, v17
	v_lshlrev_b32_e32 v12, v18, v19
	v_mul_f16_e32 v13, v48, v21
	global_store_b32 v[10:11], v14, off
	s_or_b32 vcc_lo, s0, vcc_lo
	v_cmp_ne_u32_e64 s1, v12, v15
	s_wait_alu 0xfffe
	v_add_co_ci_u32_e32 v8, vcc_lo, 0, v8, vcc_lo
	v_add_nc_u32_e32 v15, 0xfffffc10, v25
	v_cmp_ne_u32_e32 vcc_lo, 0, v6
	s_wait_alu 0xf1ff
	v_cndmask_b32_e64 v12, 0, 1, s1
	v_fmac_f16_e32 v13, v47, v4
	v_and_or_b32 v0, 0x1ff, v1, v0
	v_lshl_or_b32 v18, v15, 12, v16
	s_wait_alu 0xfffd
	v_cndmask_b32_e64 v6, 0, 1, vcc_lo
	v_or_b32_e32 v17, v19, v12
	v_cmp_gt_i32_e32 vcc_lo, 1, v15
	v_cvt_f32_f16_e32 v12, v13
	v_bfe_u32 v19, v1, 20, 11
	v_lshl_or_b32 v6, v6, 9, 0x7c00
	v_mul_f16_e32 v4, v48, v4
	s_wait_alu 0xfffd
	v_cndmask_b32_e32 v17, v18, v17, vcc_lo
	v_cmp_ne_u32_e32 vcc_lo, 0, v0
	v_cvt_f64_f32_e32 v[12:13], v12
	v_lshrrev_b32_e32 v18, 8, v1
	v_fma_f16 v4, v47, v21, -v4
	v_and_b32_e32 v22, 7, v17
	s_wait_alu 0xfffd
	v_cndmask_b32_e64 v0, 0, 1, vcc_lo
	v_cmp_gt_i32_e32 vcc_lo, 31, v20
	v_lshrrev_b32_e32 v1, 16, v1
	v_cvt_f32_f16_e32 v4, v4
	v_cmp_eq_u32_e64 s0, 3, v22
	v_and_or_b32 v0, 0xffe, v18, v0
	s_wait_alu 0xfffd
	v_cndmask_b32_e32 v8, 0x7c00, v8, vcc_lo
	v_sub_nc_u32_e32 v18, 0x3f1, v19
	v_cmp_eq_u32_e32 vcc_lo, 0x40f, v20
	v_lshrrev_b32_e32 v20, 16, v7
	v_lshrrev_b32_e32 v7, 2, v17
	v_and_or_b32 v2, 0x1ff, v3, v2
	v_med3_i32 v18, v18, 0, 13
	s_wait_alu 0xfffd
	v_cndmask_b32_e32 v8, v8, v6, vcc_lo
	v_or_b32_e32 v6, 0x1000, v0
	v_cmp_lt_i32_e32 vcc_lo, 5, v22
	v_bfe_u32 v21, v3, 20, 11
	v_add_nc_u32_e32 v19, 0xfffffc10, v19
	s_delay_alu instid0(VALU_DEP_4) | instskip(SKIP_3) | instid1(VALU_DEP_2)
	v_lshrrev_b32_e32 v17, v18, v6
	s_or_b32 vcc_lo, s0, vcc_lo
	s_wait_alu 0xfffe
	v_add_co_ci_u32_e32 v22, vcc_lo, 0, v7, vcc_lo
	v_lshlrev_b32_e32 v7, v18, v17
	v_cmp_ne_u32_e32 vcc_lo, 0, v2
	v_lshrrev_b32_e32 v18, 8, v3
	s_wait_alu 0xfffd
	v_cndmask_b32_e64 v2, 0, 1, vcc_lo
	v_cmp_ne_u32_e32 vcc_lo, v7, v6
	v_mul_f64_e32 v[6:7], s[8:9], v[12:13]
	s_delay_alu instid0(VALU_DEP_3)
	v_and_or_b32 v2, 0xffe, v18, v2
	s_wait_alu 0xfffd
	v_cndmask_b32_e64 v23, 0, 1, vcc_lo
	v_cmp_ne_u32_e32 vcc_lo, 0, v16
	v_sub_nc_u32_e32 v18, 0x3f1, v21
	v_cvt_f64_f32_e32 v[12:13], v4
	s_delay_alu instid0(VALU_DEP_4)
	v_or_b32_e32 v16, v17, v23
	s_wait_alu 0xfffd
	v_cndmask_b32_e64 v4, 0, 1, vcc_lo
	v_cmp_gt_i32_e32 vcc_lo, 31, v15
	v_lshl_or_b32 v17, v19, 12, v0
	v_or_b32_e32 v23, 0x1000, v2
	v_med3_i32 v18, v18, 0, 13
	v_lshl_or_b32 v4, v4, 9, 0x7c00
	s_wait_alu 0xfffd
	v_cndmask_b32_e32 v22, 0x7c00, v22, vcc_lo
	v_cmp_gt_i32_e32 vcc_lo, 1, v19
	s_wait_alu 0xfffd
	v_cndmask_b32_e32 v16, v17, v16, vcc_lo
	v_lshrrev_b32_e32 v17, v18, v23
	v_cmp_eq_u32_e32 vcc_lo, 0x40f, v15
	s_delay_alu instid0(VALU_DEP_3) | instskip(NEXT) | instid1(VALU_DEP_3)
	v_and_b32_e32 v15, 7, v16
	v_lshlrev_b32_e32 v18, v18, v17
	s_wait_alu 0xfffd
	v_cndmask_b32_e32 v4, v22, v4, vcc_lo
	v_and_or_b32 v8, 0x8000, v20, v8
	v_cmp_lt_i32_e32 vcc_lo, 5, v15
	v_cmp_ne_u32_e64 s0, v18, v23
	s_delay_alu instid0(VALU_DEP_4) | instskip(SKIP_2) | instid1(VALU_DEP_3)
	v_and_or_b32 v14, 0x8000, v9, v4
	v_add_nc_u32_e32 v18, 0xfffffc10, v21
	s_wait_alu 0xf1ff
	v_cndmask_b32_e64 v4, 0, 1, s0
	v_cmp_eq_u32_e64 s0, 3, v15
	v_and_b32_e32 v15, 0xffff, v8
	v_lshrrev_b32_e32 v8, 2, v16
	v_lshl_or_b32 v9, v18, 12, v2
	v_or_b32_e32 v4, v17, v4
	s_or_b32 vcc_lo, s0, vcc_lo
	v_and_or_b32 v6, 0x1ff, v7, v6
	s_wait_alu 0xfffe
	v_add_co_ci_u32_e32 v16, vcc_lo, 0, v8, vcc_lo
	v_cmp_ne_u32_e32 vcc_lo, 0, v0
	v_lshrrev_b32_e32 v17, 16, v5
	v_lshrrev_b32_e32 v20, 8, v7
	v_bfe_u32 v21, v7, 20, 11
	v_lshrrev_b32_e32 v7, 16, v7
	s_wait_alu 0xfffd
	v_cndmask_b32_e64 v0, 0, 1, vcc_lo
	v_cmp_gt_i32_e32 vcc_lo, 1, v18
	s_delay_alu instid0(VALU_DEP_2)
	v_lshl_or_b32 v0, v0, 9, 0x7c00
	s_wait_alu 0xfffd
	v_cndmask_b32_e32 v4, v9, v4, vcc_lo
	v_cmp_gt_i32_e32 vcc_lo, 31, v19
	v_mul_f64_e32 v[8:9], s[8:9], v[12:13]
	v_mul_f16_e32 v13, v46, v17
	s_wait_alu 0xfffd
	v_cndmask_b32_e32 v12, 0x7c00, v16, vcc_lo
	v_cmp_ne_u32_e32 vcc_lo, 0, v6
	s_delay_alu instid0(VALU_DEP_3)
	v_fmac_f16_e32 v13, v45, v5
	v_and_b32_e32 v16, 7, v4
	v_lshrrev_b32_e32 v4, 2, v4
	s_wait_alu 0xfffd
	v_cndmask_b32_e64 v6, 0, 1, vcc_lo
	v_cmp_eq_u32_e32 vcc_lo, 0x40f, v19
	v_cmp_eq_u32_e64 s0, 3, v16
	v_sub_nc_u32_e32 v19, 0x3f1, v21
	s_delay_alu instid0(VALU_DEP_4)
	v_and_or_b32 v6, 0xffe, v20, v6
	s_wait_alu 0xfffd
	v_cndmask_b32_e32 v0, v12, v0, vcc_lo
	v_cvt_f32_f16_e32 v12, v13
	v_cmp_lt_i32_e32 vcc_lo, 5, v16
	v_med3_i32 v19, v19, 0, 13
	v_or_b32_e32 v16, 0x1000, v6
	v_and_or_b32 v22, 0x8000, v1, v0
	v_cvt_f64_f32_e32 v[12:13], v12
	s_or_b32 vcc_lo, s0, vcc_lo
	v_mul_f16_e32 v0, v46, v5
	s_wait_alu 0xfffe
	v_add_co_ci_u32_e32 v4, vcc_lo, 0, v4, vcc_lo
	v_cmp_ne_u32_e32 vcc_lo, 0, v2
	v_lshrrev_b32_e32 v20, v19, v16
	v_fma_f16 v0, v45, v17, -v0
	v_add_nc_u32_e32 v5, 0x1000, v38
	s_wait_alu 0xfffd
	v_cndmask_b32_e64 v2, 0, 1, vcc_lo
	v_cmp_gt_i32_e32 vcc_lo, 31, v18
	v_lshlrev_b32_e32 v1, v19, v20
	v_cvt_f32_f16_e32 v0, v0
	v_lshrrev_b32_e32 v19, 16, v3
	v_lshl_or_b32 v2, v2, 9, 0x7c00
	s_wait_alu 0xfffd
	v_cndmask_b32_e32 v4, 0x7c00, v4, vcc_lo
	v_cmp_eq_u32_e32 vcc_lo, 0x40f, v18
	s_wait_alu 0xfffd
	s_delay_alu instid0(VALU_DEP_2)
	v_cndmask_b32_e32 v18, v4, v2, vcc_lo
	v_and_or_b32 v2, 0x1ff, v9, v8
	v_cmp_ne_u32_e32 vcc_lo, v1, v16
	v_cvt_f64_f32_e32 v[0:1], v0
	v_lshrrev_b32_e32 v4, 8, v9
	v_bfe_u32 v16, v9, 20, 11
	v_add_nc_u32_e32 v8, 0xfffffc10, v21
	s_wait_alu 0xfffd
	v_cndmask_b32_e64 v3, 0, 1, vcc_lo
	v_cmp_ne_u32_e32 vcc_lo, 0, v2
	v_sub_nc_u32_e32 v23, 0x3f1, v16
	v_add_nc_u32_e32 v16, 0xfffffc10, v16
	s_delay_alu instid0(VALU_DEP_4) | instskip(SKIP_4) | instid1(VALU_DEP_3)
	v_or_b32_e32 v17, v20, v3
	s_wait_alu 0xfffd
	v_cndmask_b32_e64 v2, 0, 1, vcc_lo
	v_lshl_or_b32 v20, v8, 12, v6
	v_cmp_gt_i32_e32 vcc_lo, 1, v8
	v_and_or_b32 v21, 0xffe, v4, v2
	ds_load_2addr_b32 v[2:3], v5 offset0:32 offset1:164
	v_mul_f64_e32 v[4:5], s[8:9], v[12:13]
	v_med3_i32 v13, v23, 0, 13
	s_wait_alu 0xfffd
	v_cndmask_b32_e32 v17, v20, v17, vcc_lo
	v_or_b32_e32 v12, 0x1000, v21
	v_lshl_or_b32 v20, v14, 16, v15
	v_and_or_b32 v14, 0x8000, v19, v18
	v_and_b32_e32 v15, 0xffff, v22
	v_and_b32_e32 v18, 7, v17
	v_lshrrev_b32_e32 v19, v13, v12
	v_add_co_u32 v10, vcc_lo, v10, s2
	s_wait_alu 0xfffd
	v_add_co_ci_u32_e32 v11, vcc_lo, s3, v11, vcc_lo
	s_delay_alu instid0(VALU_DEP_3)
	v_lshlrev_b32_e32 v13, v13, v19
	v_cmp_lt_i32_e32 vcc_lo, 5, v18
	v_cmp_eq_u32_e64 s0, 3, v18
	v_lshl_or_b32 v22, v14, 16, v15
	v_lshrrev_b32_e32 v14, 2, v17
	v_cmp_ne_u32_e64 s1, v13, v12
	s_wait_dscnt 0x0
	v_lshrrev_b32_e32 v18, 16, v2
	s_or_b32 vcc_lo, s0, vcc_lo
	v_lshl_or_b32 v15, v16, 12, v21
	s_wait_alu 0xfffe
	v_add_co_ci_u32_e32 v14, vcc_lo, 0, v14, vcc_lo
	v_cndmask_b32_e64 v12, 0, 1, s1
	v_mul_f16_e32 v13, v44, v18
	v_cmp_ne_u32_e32 vcc_lo, 0, v6
	v_mul_f64_e32 v[0:1], s[8:9], v[0:1]
	s_delay_alu instid0(VALU_DEP_4) | instskip(NEXT) | instid1(VALU_DEP_4)
	v_or_b32_e32 v12, v19, v12
	v_fmac_f16_e32 v13, v43, v2
	s_wait_alu 0xfffd
	v_cndmask_b32_e64 v6, 0, 1, vcc_lo
	v_cmp_gt_i32_e32 vcc_lo, 1, v16
	v_mul_f16_e32 v2, v44, v2
	s_delay_alu instid0(VALU_DEP_3)
	v_lshl_or_b32 v6, v6, 9, 0x7c00
	s_wait_alu 0xfffd
	v_cndmask_b32_e32 v17, v15, v12, vcc_lo
	v_cvt_f32_f16_e32 v12, v13
	v_cmp_gt_i32_e32 vcc_lo, 31, v8
	v_and_or_b32 v4, 0x1ff, v5, v4
	v_fma_f16 v2, v43, v18, -v2
	v_and_b32_e32 v23, 7, v17
	v_cvt_f64_f32_e32 v[12:13], v12
	s_wait_alu 0xfffd
	v_cndmask_b32_e32 v19, 0x7c00, v14, vcc_lo
	v_add_co_u32 v14, vcc_lo, v10, s2
	s_wait_alu 0xfffd
	v_add_co_ci_u32_e32 v15, vcc_lo, s3, v11, vcc_lo
	v_cmp_eq_u32_e32 vcc_lo, 0x40f, v8
	v_cmp_ne_u32_e64 s0, 0, v4
	v_lshrrev_b32_e32 v17, 2, v17
	v_lshrrev_b32_e32 v8, 8, v5
	v_cvt_f32_f16_e32 v2, v2
	s_wait_alu 0xfffd
	v_cndmask_b32_e32 v6, v19, v6, vcc_lo
	v_cmp_lt_i32_e32 vcc_lo, 5, v23
	s_wait_alu 0xf1ff
	v_cndmask_b32_e64 v4, 0, 1, s0
	v_cmp_eq_u32_e64 s0, 3, v23
	v_bfe_u32 v19, v5, 20, 11
	v_and_or_b32 v24, 0x8000, v7, v6
	global_store_b32 v[10:11], v20, off
	global_store_b32 v[14:15], v22, off
	v_and_or_b32 v4, 0xffe, v8, v4
	s_or_b32 vcc_lo, s0, vcc_lo
	v_sub_nc_u32_e32 v8, 0x3f1, v19
	s_wait_alu 0xfffe
	v_add_co_ci_u32_e32 v17, vcc_lo, 0, v17, vcc_lo
	v_cmp_ne_u32_e32 vcc_lo, 0, v21
	v_or_b32_e32 v23, 0x1000, v4
	v_med3_i32 v8, v8, 0, 13
	v_and_or_b32 v0, 0x1ff, v1, v0
	v_add_nc_u32_e32 v18, 0xfffffc10, v19
	s_wait_alu 0xfffd
	v_cndmask_b32_e64 v21, 0, 1, vcc_lo
	v_cmp_gt_i32_e32 vcc_lo, 31, v16
	v_lshrrev_b32_e32 v25, v8, v23
	v_lshrrev_b32_e32 v5, 16, v5
	v_cmp_eq_u32_e64 s1, 0x40f, v18
	v_lshl_or_b32 v21, v21, 9, 0x7c00
	s_wait_alu 0xfffd
	v_cndmask_b32_e32 v17, 0x7c00, v17, vcc_lo
	v_cmp_eq_u32_e32 vcc_lo, 0x40f, v16
	v_lshlrev_b32_e32 v8, v8, v25
	v_mul_f64_e32 v[6:7], s[8:9], v[12:13]
	v_lshl_or_b32 v13, v18, 12, v4
	s_wait_alu 0xfffd
	v_cndmask_b32_e32 v16, v17, v21, vcc_lo
	v_cmp_ne_u32_e32 vcc_lo, 0, v0
	v_lshrrev_b32_e32 v17, 16, v9
	v_lshrrev_b32_e32 v9, 8, v1
	v_bfe_u32 v21, v1, 20, 11
	v_lshrrev_b32_e32 v1, 16, v1
	s_wait_alu 0xfffd
	v_cndmask_b32_e64 v0, 0, 1, vcc_lo
	v_cmp_ne_u32_e32 vcc_lo, v8, v23
	s_delay_alu instid0(VALU_DEP_2)
	v_and_or_b32 v0, 0xffe, v9, v0
	s_wait_alu 0xfffd
	v_cndmask_b32_e64 v8, 0, 1, vcc_lo
	v_sub_nc_u32_e32 v9, 0x3f1, v21
	v_cmp_gt_i32_e32 vcc_lo, 1, v18
	v_or_b32_e32 v19, 0x1000, v0
	s_delay_alu instid0(VALU_DEP_4) | instskip(NEXT) | instid1(VALU_DEP_4)
	v_or_b32_e32 v12, v25, v8
	v_med3_i32 v23, v9, 0, 13
	v_cvt_f64_f32_e32 v[8:9], v2
	v_and_or_b32 v2, 0x8000, v17, v16
	v_and_b32_e32 v16, 0xffff, v24
	s_wait_alu 0xfffd
	v_cndmask_b32_e32 v12, v13, v12, vcc_lo
	v_lshrrev_b32_e32 v13, v23, v19
	v_add_co_u32 v10, vcc_lo, v14, s2
	v_lshl_or_b32 v16, v2, 16, v16
	s_delay_alu instid0(VALU_DEP_4) | instskip(NEXT) | instid1(VALU_DEP_4)
	v_and_b32_e32 v2, 7, v12
	v_lshlrev_b32_e32 v17, v23, v13
	v_lshrrev_b32_e32 v14, 16, v3
	s_wait_alu 0xfffd
	v_add_co_ci_u32_e32 v11, vcc_lo, s3, v15, vcc_lo
	v_cmp_lt_i32_e32 vcc_lo, 5, v2
	v_cmp_ne_u32_e64 s0, v17, v19
	v_add_nc_u32_e32 v17, 0xfffffc10, v21
	v_mul_f16_e32 v19, v42, v14
	v_and_or_b32 v6, 0x1ff, v7, v6
	v_lshrrev_b32_e32 v20, 8, v7
	s_wait_alu 0xf1ff
	v_cndmask_b32_e64 v15, 0, 1, s0
	v_cmp_eq_u32_e64 s0, 3, v2
	v_lshrrev_b32_e32 v2, 2, v12
	v_fmac_f16_e32 v19, v41, v3
	s_delay_alu instid0(VALU_DEP_4) | instskip(NEXT) | instid1(VALU_DEP_4)
	v_or_b32_e32 v12, v13, v15
	s_or_b32 vcc_lo, s0, vcc_lo
	v_lshl_or_b32 v13, v17, 12, v0
	s_wait_alu 0xfffe
	v_add_co_ci_u32_e32 v2, vcc_lo, 0, v2, vcc_lo
	v_cmp_gt_i32_e32 vcc_lo, 1, v17
	v_cvt_f32_f16_e32 v15, v19
	s_wait_alu 0xfffd
	v_cndmask_b32_e32 v19, v13, v12, vcc_lo
	v_cmp_ne_u32_e32 vcc_lo, 0, v6
	s_delay_alu instid0(VALU_DEP_3)
	v_cvt_f64_f32_e32 v[12:13], v15
	v_bfe_u32 v15, v7, 20, 11
	v_mul_f64_e32 v[8:9], s[8:9], v[8:9]
	v_and_b32_e32 v21, 7, v19
	s_wait_alu 0xfffd
	v_cndmask_b32_e64 v6, 0, 1, vcc_lo
	v_cmp_ne_u32_e32 vcc_lo, 0, v4
	v_lshrrev_b32_e32 v19, 2, v19
	v_cmp_eq_u32_e64 s0, 3, v21
	s_delay_alu instid0(VALU_DEP_4)
	v_and_or_b32 v6, 0xffe, v20, v6
	s_wait_alu 0xfffd
	v_cndmask_b32_e64 v4, 0, 1, vcc_lo
	v_cmp_gt_i32_e32 vcc_lo, 31, v18
	v_sub_nc_u32_e32 v20, 0x3f1, v15
	v_add_nc_u32_e32 v15, 0xfffffc10, v15
	v_or_b32_e32 v22, 0x1000, v6
	v_lshl_or_b32 v4, v4, 9, 0x7c00
	s_wait_alu 0xfffd
	v_cndmask_b32_e32 v2, 0x7c00, v2, vcc_lo
	v_cmp_lt_i32_e32 vcc_lo, 5, v21
	v_med3_i32 v20, v20, 0, 13
	s_delay_alu instid0(VALU_DEP_3) | instskip(SKIP_1) | instid1(VALU_DEP_2)
	v_cndmask_b32_e64 v2, v2, v4, s1
	s_or_b32 vcc_lo, s0, vcc_lo
	v_lshrrev_b32_e32 v4, v20, v22
	s_wait_alu 0xfffe
	v_add_co_ci_u32_e32 v18, vcc_lo, 0, v19, vcc_lo
	v_cmp_ne_u32_e32 vcc_lo, 0, v0
	v_and_or_b32 v5, 0x8000, v5, v2
	v_lshlrev_b32_e32 v19, v20, v4
	s_wait_alu 0xfffd
	v_cndmask_b32_e64 v0, 0, 1, vcc_lo
	v_cmp_gt_i32_e32 vcc_lo, 31, v17
	v_and_b32_e32 v5, 0xffff, v5
	s_delay_alu instid0(VALU_DEP_3)
	v_lshl_or_b32 v0, v0, 9, 0x7c00
	s_wait_alu 0xfffd
	v_cndmask_b32_e32 v18, 0x7c00, v18, vcc_lo
	v_cmp_ne_u32_e32 vcc_lo, v19, v22
	v_and_or_b32 v8, 0x1ff, v9, v8
	s_wait_alu 0xfffd
	v_cndmask_b32_e64 v2, 0, 1, vcc_lo
	v_cmp_eq_u32_e32 vcc_lo, 0x40f, v17
	ds_load_b32 v17, v38 offset:5280
	v_or_b32_e32 v4, v4, v2
	s_wait_alu 0xfffd
	v_cndmask_b32_e32 v0, v18, v0, vcc_lo
	v_mul_f16_e32 v18, v42, v3
	v_mul_f64_e32 v[2:3], s[8:9], v[12:13]
	v_lshl_or_b32 v12, v15, 12, v6
	v_cmp_gt_i32_e32 vcc_lo, 1, v15
	s_delay_alu instid0(VALU_DEP_4)
	v_fma_f16 v13, v41, v14, -v18
	v_bfe_u32 v14, v9, 20, 11
	v_and_or_b32 v18, 0x8000, v1, v0
	s_wait_alu 0xfffd
	v_cndmask_b32_e32 v4, v12, v4, vcc_lo
	v_cmp_ne_u32_e32 vcc_lo, 0, v8
	v_cvt_f32_f16_e32 v12, v13
	v_lshrrev_b32_e32 v13, 8, v9
	v_lshl_or_b32 v18, v18, 16, v5
	v_and_b32_e32 v19, 7, v4
	s_wait_alu 0xfffd
	v_cndmask_b32_e64 v8, 0, 1, vcc_lo
	v_cvt_f64_f32_e32 v[0:1], v12
	v_sub_nc_u32_e32 v12, 0x3f1, v14
	v_lshrrev_b32_e32 v4, 2, v4
	v_cmp_lt_i32_e32 vcc_lo, 5, v19
	v_and_or_b32 v8, 0xffe, v13, v8
	s_wait_dscnt 0x0
	v_lshrrev_b32_e32 v13, 16, v17
	v_cmp_eq_u32_e64 s0, 3, v19
	v_med3_i32 v12, v12, 0, 13
	v_add_nc_u32_e32 v14, 0xfffffc10, v14
	v_or_b32_e32 v20, 0x1000, v8
	v_mul_f16_e32 v21, v40, v13
	s_or_b32 vcc_lo, s0, vcc_lo
	s_wait_alu 0xfffe
	v_add_co_ci_u32_e32 v4, vcc_lo, 0, v4, vcc_lo
	v_lshrrev_b32_e32 v19, v12, v20
	v_fmac_f16_e32 v21, v39, v17
	v_cmp_ne_u32_e32 vcc_lo, 0, v6
	s_delay_alu instid0(VALU_DEP_3) | instskip(NEXT) | instid1(VALU_DEP_3)
	v_lshlrev_b32_e32 v6, v12, v19
	v_cvt_f32_f16_e32 v12, v21
	s_wait_alu 0xfffd
	v_cndmask_b32_e64 v5, 0, 1, vcc_lo
	v_cmp_gt_i32_e32 vcc_lo, 31, v15
	v_and_or_b32 v2, 0x1ff, v3, v2
	s_delay_alu instid0(VALU_DEP_3)
	v_lshl_or_b32 v22, v5, 9, 0x7c00
	s_wait_alu 0xfffd
	v_cndmask_b32_e32 v21, 0x7c00, v4, vcc_lo
	v_cvt_f64_f32_e32 v[4:5], v12
	v_cmp_ne_u32_e32 vcc_lo, v6, v20
	v_mul_f16_e32 v12, v40, v17
	v_lshrrev_b32_e32 v17, 8, v3
	s_wait_alu 0xfffd
	v_cndmask_b32_e64 v6, 0, 1, vcc_lo
	v_cmp_ne_u32_e32 vcc_lo, 0, v2
	v_fma_f16 v12, v39, v13, -v12
	v_lshl_or_b32 v13, v14, 12, v8
	v_mul_f64_e32 v[0:1], s[8:9], v[0:1]
	v_or_b32_e32 v6, v19, v6
	s_wait_alu 0xfffd
	v_cndmask_b32_e64 v2, 0, 1, vcc_lo
	v_bfe_u32 v19, v3, 20, 11
	v_cmp_gt_i32_e32 vcc_lo, 1, v14
	v_cvt_f32_f16_e32 v12, v12
	v_lshrrev_b32_e32 v3, 16, v3
	v_and_or_b32 v2, 0xffe, v17, v2
	v_sub_nc_u32_e32 v17, 0x3f1, v19
	s_wait_alu 0xfffd
	v_cndmask_b32_e32 v20, v13, v6, vcc_lo
	v_cmp_eq_u32_e32 vcc_lo, 0x40f, v15
	v_cvt_f64_f32_e32 v[12:13], v12
	v_or_b32_e32 v23, 0x1000, v2
	v_med3_i32 v17, v17, 0, 13
	v_add_nc_u32_e32 v19, 0xfffffc10, v19
	s_wait_alu 0xfffd
	v_dual_cndmask_b32 v15, v21, v22 :: v_dual_and_b32 v22, 7, v20
	v_add_co_u32 v6, vcc_lo, v10, s2
	v_lshrrev_b32_e32 v24, v17, v23
	v_lshrrev_b32_e32 v21, 16, v7
	s_wait_alu 0xfffd
	v_add_co_ci_u32_e32 v7, vcc_lo, s3, v11, vcc_lo
	v_cmp_lt_i32_e32 vcc_lo, 5, v22
	v_cmp_eq_u32_e64 s0, 3, v22
	v_lshrrev_b32_e32 v20, 2, v20
	v_lshlrev_b32_e32 v17, v17, v24
	v_and_or_b32 v15, 0x8000, v21, v15
	v_mul_f64_e32 v[4:5], s[8:9], v[4:5]
	s_or_b32 vcc_lo, s0, vcc_lo
	v_lshl_or_b32 v21, v19, 12, v2
	s_wait_alu 0xfffe
	v_add_co_ci_u32_e32 v20, vcc_lo, 0, v20, vcc_lo
	v_cmp_ne_u32_e64 s1, v17, v23
	v_cmp_ne_u32_e32 vcc_lo, 0, v8
	s_wait_alu 0xf1ff
	s_delay_alu instid0(VALU_DEP_2)
	v_cndmask_b32_e64 v17, 0, 1, s1
	s_wait_alu 0xfffd
	v_cndmask_b32_e64 v8, 0, 1, vcc_lo
	v_cmp_gt_i32_e32 vcc_lo, 31, v14
	v_and_or_b32 v0, 0x1ff, v1, v0
	v_lshrrev_b32_e32 v22, 8, v1
	v_or_b32_e32 v17, v24, v17
	v_lshl_or_b32 v8, v8, 9, 0x7c00
	s_wait_alu 0xfffd
	v_cndmask_b32_e32 v20, 0x7c00, v20, vcc_lo
	v_cmp_gt_i32_e32 vcc_lo, 1, v19
	s_wait_alu 0xfffd
	v_cndmask_b32_e32 v17, v21, v17, vcc_lo
	v_cmp_eq_u32_e32 vcc_lo, 0x40f, v14
	s_wait_alu 0xfffd
	s_delay_alu instid0(VALU_DEP_2)
	v_dual_cndmask_b32 v14, v20, v8 :: v_dual_and_b32 v21, 7, v17
	v_lshrrev_b32_e32 v20, 16, v9
	v_cmp_ne_u32_e32 vcc_lo, 0, v0
	v_mul_f64_e32 v[8:9], s[8:9], v[12:13]
	v_bfe_u32 v12, v1, 20, 11
	v_cmp_eq_u32_e64 s0, 3, v21
	v_and_or_b32 v13, 0x8000, v20, v14
	v_and_b32_e32 v14, 0xffff, v15
	s_wait_alu 0xfffd
	v_cndmask_b32_e64 v0, 0, 1, vcc_lo
	v_cmp_lt_i32_e32 vcc_lo, 5, v21
	v_sub_nc_u32_e32 v15, 0x3f1, v12
	v_and_or_b32 v4, 0x1ff, v5, v4
	v_lshl_or_b32 v13, v13, 16, v14
	v_lshrrev_b32_e32 v14, 2, v17
	v_and_or_b32 v0, 0xffe, v22, v0
	s_or_b32 vcc_lo, s0, vcc_lo
	v_med3_i32 v15, v15, 0, 13
	v_lshrrev_b32_e32 v21, 8, v5
	s_wait_alu 0xfffe
	v_add_co_ci_u32_e32 v14, vcc_lo, 0, v14, vcc_lo
	v_or_b32_e32 v17, 0x1000, v0
	v_cmp_ne_u32_e32 vcc_lo, 0, v2
	v_bfe_u32 v22, v5, 20, 11
	v_add_nc_u32_e32 v12, 0xfffffc10, v12
	v_lshrrev_b32_e32 v1, 16, v1
	v_lshrrev_b32_e32 v20, v15, v17
	s_wait_alu 0xfffd
	v_cndmask_b32_e64 v2, 0, 1, vcc_lo
	v_cmp_gt_i32_e32 vcc_lo, 31, v19
	v_lshrrev_b32_e32 v5, 16, v5
	v_lshlrev_b32_e32 v15, v15, v20
	s_delay_alu instid0(VALU_DEP_4)
	v_lshl_or_b32 v2, v2, 9, 0x7c00
	s_wait_alu 0xfffd
	v_cndmask_b32_e32 v14, 0x7c00, v14, vcc_lo
	v_cmp_ne_u32_e32 vcc_lo, 0, v4
	s_wait_alu 0xfffd
	v_cndmask_b32_e64 v4, 0, 1, vcc_lo
	v_cmp_ne_u32_e32 vcc_lo, v15, v17
	v_sub_nc_u32_e32 v17, 0x3f1, v22
	v_and_or_b32 v8, 0x1ff, v9, v8
	s_delay_alu instid0(VALU_DEP_4)
	v_and_or_b32 v4, 0xffe, v21, v4
	s_wait_alu 0xfffd
	v_cndmask_b32_e64 v15, 0, 1, vcc_lo
	v_cmp_eq_u32_e32 vcc_lo, 0x40f, v19
	v_med3_i32 v17, v17, 0, 13
	v_bfe_u32 v21, v9, 20, 11
	v_or_b32_e32 v19, 0x1000, v4
	s_wait_alu 0xfffd
	v_cndmask_b32_e32 v2, v14, v2, vcc_lo
	v_or_b32_e32 v14, v20, v15
	v_lshl_or_b32 v15, v12, 12, v0
	v_cmp_gt_i32_e32 vcc_lo, 1, v12
	v_lshrrev_b32_e32 v20, 8, v9
	v_and_or_b32 v2, 0x8000, v3, v2
	s_wait_alu 0xfffd
	v_cndmask_b32_e32 v14, v15, v14, vcc_lo
	v_lshrrev_b32_e32 v15, v17, v19
	v_cmp_ne_u32_e32 vcc_lo, 0, v8
	v_and_b32_e32 v2, 0xffff, v2
	s_delay_alu instid0(VALU_DEP_4) | instskip(NEXT) | instid1(VALU_DEP_4)
	v_and_b32_e32 v23, 7, v14
	v_lshlrev_b32_e32 v17, v17, v15
	s_wait_alu 0xfffd
	v_cndmask_b32_e64 v8, 0, 1, vcc_lo
	v_lshrrev_b32_e32 v14, 2, v14
	v_cmp_lt_i32_e32 vcc_lo, 5, v23
	v_cmp_ne_u32_e64 s0, v17, v19
	s_delay_alu instid0(VALU_DEP_4)
	v_and_or_b32 v3, 0xffe, v20, v8
	v_sub_nc_u32_e32 v8, 0x3f1, v21
	v_add_nc_u32_e32 v20, 0xfffffc10, v22
	s_wait_alu 0xf1ff
	v_cndmask_b32_e64 v17, 0, 1, s0
	v_cmp_eq_u32_e64 s0, 3, v23
	v_or_b32_e32 v19, 0x1000, v3
	v_med3_i32 v8, v8, 0, 13
	v_lshl_or_b32 v22, v20, 12, v4
	v_or_b32_e32 v15, v15, v17
	s_or_b32 vcc_lo, s0, vcc_lo
	s_wait_alu 0xfffe
	v_add_co_ci_u32_e32 v14, vcc_lo, 0, v14, vcc_lo
	v_lshrrev_b32_e32 v17, v8, v19
	v_cmp_gt_i32_e32 vcc_lo, 1, v20
	s_wait_alu 0xfffd
	s_delay_alu instid0(VALU_DEP_2) | instskip(SKIP_3) | instid1(VALU_DEP_3)
	v_dual_cndmask_b32 v15, v22, v15 :: v_dual_lshlrev_b32 v8, v8, v17
	v_cmp_ne_u32_e32 vcc_lo, 0, v0
	s_wait_alu 0xfffd
	v_cndmask_b32_e64 v0, 0, 1, vcc_lo
	v_cmp_ne_u32_e32 vcc_lo, v8, v19
	v_add_nc_u32_e32 v19, 0xfffffc10, v21
	v_and_b32_e32 v21, 7, v15
	s_delay_alu instid0(VALU_DEP_4)
	v_lshl_or_b32 v0, v0, 9, 0x7c00
	s_wait_alu 0xfffd
	v_cndmask_b32_e64 v8, 0, 1, vcc_lo
	v_cmp_gt_i32_e32 vcc_lo, 31, v12
	v_cmp_gt_i32_e64 s1, 1, v19
	v_cmp_eq_u32_e64 s0, 3, v21
	s_delay_alu instid0(VALU_DEP_4)
	v_or_b32_e32 v8, v17, v8
	v_lshl_or_b32 v17, v19, 12, v3
	s_wait_alu 0xfffd
	v_cndmask_b32_e32 v14, 0x7c00, v14, vcc_lo
	v_cmp_lt_i32_e32 vcc_lo, 5, v21
	s_wait_alu 0xf1ff
	v_cndmask_b32_e64 v8, v17, v8, s1
	v_cmp_eq_u32_e64 s1, 0x40f, v12
	v_lshrrev_b32_e32 v12, 2, v15
	s_or_b32 vcc_lo, s0, vcc_lo
	s_delay_alu instid0(VALU_DEP_2) | instskip(SKIP_1) | instid1(VALU_DEP_2)
	v_cndmask_b32_e64 v0, v14, v0, s1
	s_wait_alu 0xfffe
	v_add_co_ci_u32_e32 v12, vcc_lo, 0, v12, vcc_lo
	v_and_b32_e32 v14, 7, v8
	v_cmp_ne_u32_e32 vcc_lo, 0, v4
	v_lshrrev_b32_e32 v8, 2, v8
	v_cmp_gt_i32_e64 s1, 31, v20
	s_delay_alu instid0(VALU_DEP_4)
	v_cmp_eq_u32_e64 s0, 3, v14
	s_wait_alu 0xfffd
	v_cndmask_b32_e64 v4, 0, 1, vcc_lo
	v_cmp_lt_i32_e32 vcc_lo, 5, v14
	s_wait_alu 0xf1ff
	v_cndmask_b32_e64 v12, 0x7c00, v12, s1
	s_delay_alu instid0(VALU_DEP_3)
	v_lshl_or_b32 v4, v4, 9, 0x7c00
	s_or_b32 vcc_lo, s0, vcc_lo
	s_wait_alu 0xfffe
	v_add_co_ci_u32_e32 v8, vcc_lo, 0, v8, vcc_lo
	v_cmp_ne_u32_e32 vcc_lo, 0, v3
	s_wait_alu 0xfffd
	v_cndmask_b32_e64 v3, 0, 1, vcc_lo
	v_cmp_eq_u32_e32 vcc_lo, 0x40f, v20
	s_delay_alu instid0(VALU_DEP_2) | instskip(SKIP_4) | instid1(VALU_DEP_3)
	v_lshl_or_b32 v3, v3, 9, 0x7c00
	s_wait_alu 0xfffd
	v_cndmask_b32_e32 v4, v12, v4, vcc_lo
	v_cmp_gt_i32_e32 vcc_lo, 31, v19
	v_and_or_b32 v12, 0x8000, v1, v0
	v_and_or_b32 v4, 0x8000, v5, v4
	s_wait_alu 0xfffd
	v_cndmask_b32_e32 v8, 0x7c00, v8, vcc_lo
	v_cmp_eq_u32_e32 vcc_lo, 0x40f, v19
	v_lshrrev_b32_e32 v5, 16, v9
	s_wait_alu 0xfffd
	s_delay_alu instid0(VALU_DEP_3)
	v_dual_cndmask_b32 v3, v8, v3 :: v_dual_and_b32 v4, 0xffff, v4
	v_add_co_u32 v0, vcc_lo, v6, s2
	s_wait_alu 0xfffd
	v_add_co_ci_u32_e32 v1, vcc_lo, s3, v7, vcc_lo
	v_lshl_or_b32 v8, v12, 16, v2
	v_and_or_b32 v5, 0x8000, v5, v3
	v_add_co_u32 v2, vcc_lo, v0, s2
	s_wait_alu 0xfffd
	v_add_co_ci_u32_e32 v3, vcc_lo, s3, v1, vcc_lo
	s_delay_alu instid0(VALU_DEP_3) | instskip(NEXT) | instid1(VALU_DEP_3)
	v_lshl_or_b32 v9, v5, 16, v4
	v_add_co_u32 v4, vcc_lo, v2, s2
	s_wait_alu 0xfffd
	s_delay_alu instid0(VALU_DEP_3)
	v_add_co_ci_u32_e32 v5, vcc_lo, s3, v3, vcc_lo
	global_store_b32 v[10:11], v16, off
	global_store_b32 v[6:7], v18, off
	global_store_b32 v[0:1], v13, off
	global_store_b32 v[2:3], v8, off
	global_store_b32 v[4:5], v9, off
.LBB0_18:
	s_nop 0
	s_sendmsg sendmsg(MSG_DEALLOC_VGPRS)
	s_endpgm
	.section	.rodata,"a",@progbits
	.p2align	6, 0x0
	.amdhsa_kernel bluestein_single_fwd_len1452_dim1_half_op_CI_CI
		.amdhsa_group_segment_fixed_size 5808
		.amdhsa_private_segment_fixed_size 0
		.amdhsa_kernarg_size 104
		.amdhsa_user_sgpr_count 2
		.amdhsa_user_sgpr_dispatch_ptr 0
		.amdhsa_user_sgpr_queue_ptr 0
		.amdhsa_user_sgpr_kernarg_segment_ptr 1
		.amdhsa_user_sgpr_dispatch_id 0
		.amdhsa_user_sgpr_private_segment_size 0
		.amdhsa_wavefront_size32 1
		.amdhsa_uses_dynamic_stack 0
		.amdhsa_enable_private_segment 0
		.amdhsa_system_sgpr_workgroup_id_x 1
		.amdhsa_system_sgpr_workgroup_id_y 0
		.amdhsa_system_sgpr_workgroup_id_z 0
		.amdhsa_system_sgpr_workgroup_info 0
		.amdhsa_system_vgpr_workitem_id 0
		.amdhsa_next_free_vgpr 194
		.amdhsa_next_free_sgpr 20
		.amdhsa_reserve_vcc 1
		.amdhsa_float_round_mode_32 0
		.amdhsa_float_round_mode_16_64 0
		.amdhsa_float_denorm_mode_32 3
		.amdhsa_float_denorm_mode_16_64 3
		.amdhsa_fp16_overflow 0
		.amdhsa_workgroup_processor_mode 1
		.amdhsa_memory_ordered 1
		.amdhsa_forward_progress 0
		.amdhsa_round_robin_scheduling 0
		.amdhsa_exception_fp_ieee_invalid_op 0
		.amdhsa_exception_fp_denorm_src 0
		.amdhsa_exception_fp_ieee_div_zero 0
		.amdhsa_exception_fp_ieee_overflow 0
		.amdhsa_exception_fp_ieee_underflow 0
		.amdhsa_exception_fp_ieee_inexact 0
		.amdhsa_exception_int_div_zero 0
	.end_amdhsa_kernel
	.text
.Lfunc_end0:
	.size	bluestein_single_fwd_len1452_dim1_half_op_CI_CI, .Lfunc_end0-bluestein_single_fwd_len1452_dim1_half_op_CI_CI
                                        ; -- End function
	.section	.AMDGPU.csdata,"",@progbits
; Kernel info:
; codeLenInByte = 23696
; NumSgprs: 22
; NumVgprs: 194
; ScratchSize: 0
; MemoryBound: 0
; FloatMode: 240
; IeeeMode: 1
; LDSByteSize: 5808 bytes/workgroup (compile time only)
; SGPRBlocks: 2
; VGPRBlocks: 24
; NumSGPRsForWavesPerEU: 22
; NumVGPRsForWavesPerEU: 194
; Occupancy: 7
; WaveLimiterHint : 1
; COMPUTE_PGM_RSRC2:SCRATCH_EN: 0
; COMPUTE_PGM_RSRC2:USER_SGPR: 2
; COMPUTE_PGM_RSRC2:TRAP_HANDLER: 0
; COMPUTE_PGM_RSRC2:TGID_X_EN: 1
; COMPUTE_PGM_RSRC2:TGID_Y_EN: 0
; COMPUTE_PGM_RSRC2:TGID_Z_EN: 0
; COMPUTE_PGM_RSRC2:TIDIG_COMP_CNT: 0
	.text
	.p2alignl 7, 3214868480
	.fill 96, 4, 3214868480
	.type	__hip_cuid_1f69bb7883a8a8bc,@object ; @__hip_cuid_1f69bb7883a8a8bc
	.section	.bss,"aw",@nobits
	.globl	__hip_cuid_1f69bb7883a8a8bc
__hip_cuid_1f69bb7883a8a8bc:
	.byte	0                               ; 0x0
	.size	__hip_cuid_1f69bb7883a8a8bc, 1

	.ident	"AMD clang version 19.0.0git (https://github.com/RadeonOpenCompute/llvm-project roc-6.4.0 25133 c7fe45cf4b819c5991fe208aaa96edf142730f1d)"
	.section	".note.GNU-stack","",@progbits
	.addrsig
	.addrsig_sym __hip_cuid_1f69bb7883a8a8bc
	.amdgpu_metadata
---
amdhsa.kernels:
  - .args:
      - .actual_access:  read_only
        .address_space:  global
        .offset:         0
        .size:           8
        .value_kind:     global_buffer
      - .actual_access:  read_only
        .address_space:  global
        .offset:         8
        .size:           8
        .value_kind:     global_buffer
      - .actual_access:  read_only
        .address_space:  global
        .offset:         16
        .size:           8
        .value_kind:     global_buffer
      - .actual_access:  read_only
        .address_space:  global
        .offset:         24
        .size:           8
        .value_kind:     global_buffer
      - .actual_access:  read_only
        .address_space:  global
        .offset:         32
        .size:           8
        .value_kind:     global_buffer
      - .offset:         40
        .size:           8
        .value_kind:     by_value
      - .address_space:  global
        .offset:         48
        .size:           8
        .value_kind:     global_buffer
      - .address_space:  global
        .offset:         56
        .size:           8
        .value_kind:     global_buffer
      - .address_space:  global
        .offset:         64
        .size:           8
        .value_kind:     global_buffer
      - .address_space:  global
        .offset:         72
        .size:           8
        .value_kind:     global_buffer
      - .offset:         80
        .size:           4
        .value_kind:     by_value
      - .address_space:  global
        .offset:         88
        .size:           8
        .value_kind:     global_buffer
      - .address_space:  global
        .offset:         96
        .size:           8
        .value_kind:     global_buffer
    .group_segment_fixed_size: 5808
    .kernarg_segment_align: 8
    .kernarg_segment_size: 104
    .language:       OpenCL C
    .language_version:
      - 2
      - 0
    .max_flat_workgroup_size: 132
    .name:           bluestein_single_fwd_len1452_dim1_half_op_CI_CI
    .private_segment_fixed_size: 0
    .sgpr_count:     22
    .sgpr_spill_count: 0
    .symbol:         bluestein_single_fwd_len1452_dim1_half_op_CI_CI.kd
    .uniform_work_group_size: 1
    .uses_dynamic_stack: false
    .vgpr_count:     194
    .vgpr_spill_count: 0
    .wavefront_size: 32
    .workgroup_processor_mode: 1
amdhsa.target:   amdgcn-amd-amdhsa--gfx1201
amdhsa.version:
  - 1
  - 2
...

	.end_amdgpu_metadata
